;; amdgpu-corpus repo=ROCm/rocFFT kind=compiled arch=gfx1201 opt=O3
	.text
	.amdgcn_target "amdgcn-amd-amdhsa--gfx1201"
	.amdhsa_code_object_version 6
	.protected	fft_rtc_back_len306_factors_17_2_9_wgs_238_tpt_34_halfLds_dp_ip_CI_unitstride_sbrr_R2C_dirReg ; -- Begin function fft_rtc_back_len306_factors_17_2_9_wgs_238_tpt_34_halfLds_dp_ip_CI_unitstride_sbrr_R2C_dirReg
	.globl	fft_rtc_back_len306_factors_17_2_9_wgs_238_tpt_34_halfLds_dp_ip_CI_unitstride_sbrr_R2C_dirReg
	.p2align	8
	.type	fft_rtc_back_len306_factors_17_2_9_wgs_238_tpt_34_halfLds_dp_ip_CI_unitstride_sbrr_R2C_dirReg,@function
fft_rtc_back_len306_factors_17_2_9_wgs_238_tpt_34_halfLds_dp_ip_CI_unitstride_sbrr_R2C_dirReg: ; @fft_rtc_back_len306_factors_17_2_9_wgs_238_tpt_34_halfLds_dp_ip_CI_unitstride_sbrr_R2C_dirReg
; %bb.0:
	s_load_b128 s[4:7], s[0:1], 0x0
	v_mul_u32_u24_e32 v1, 0x788, v0
	s_clause 0x1
	s_load_b64 s[8:9], s[0:1], 0x50
	s_load_b64 s[10:11], s[0:1], 0x18
	v_mov_b32_e32 v5, 0
	v_lshrrev_b32_e32 v1, 16, v1
	s_delay_alu instid0(VALU_DEP_1) | instskip(SKIP_3) | instid1(VALU_DEP_1)
	v_mad_co_u64_u32 v[1:2], null, ttmp9, 7, v[1:2]
	v_mov_b32_e32 v3, 0
	v_mov_b32_e32 v4, 0
	;; [unrolled: 1-line block ×4, first 2 shown]
	s_wait_kmcnt 0x0
	v_cmp_lt_u64_e64 s2, s[6:7], 2
	v_mov_b32_e32 v9, v1
	s_delay_alu instid0(VALU_DEP_2)
	s_and_b32 vcc_lo, exec_lo, s2
	s_cbranch_vccnz .LBB0_8
; %bb.1:
	s_load_b64 s[2:3], s[0:1], 0x10
	v_dual_mov_b32 v3, 0 :: v_dual_mov_b32 v8, v2
	v_dual_mov_b32 v4, 0 :: v_dual_mov_b32 v7, v1
	s_add_nc_u64 s[12:13], s[10:11], 8
	s_mov_b64 s[14:15], 1
	s_wait_kmcnt 0x0
	s_add_nc_u64 s[16:17], s[2:3], 8
	s_mov_b32 s3, 0
.LBB0_2:                                ; =>This Inner Loop Header: Depth=1
	s_load_b64 s[18:19], s[16:17], 0x0
                                        ; implicit-def: $vgpr9_vgpr10
	s_mov_b32 s2, exec_lo
	s_wait_kmcnt 0x0
	v_or_b32_e32 v6, s19, v8
	s_delay_alu instid0(VALU_DEP_1)
	v_cmpx_ne_u64_e32 0, v[5:6]
	s_wait_alu 0xfffe
	s_xor_b32 s20, exec_lo, s2
	s_cbranch_execz .LBB0_4
; %bb.3:                                ;   in Loop: Header=BB0_2 Depth=1
	s_cvt_f32_u32 s2, s18
	s_cvt_f32_u32 s21, s19
	s_sub_nc_u64 s[24:25], 0, s[18:19]
	s_wait_alu 0xfffe
	s_delay_alu instid0(SALU_CYCLE_1) | instskip(SKIP_1) | instid1(SALU_CYCLE_2)
	s_fmamk_f32 s2, s21, 0x4f800000, s2
	s_wait_alu 0xfffe
	v_s_rcp_f32 s2, s2
	s_delay_alu instid0(TRANS32_DEP_1) | instskip(SKIP_1) | instid1(SALU_CYCLE_2)
	s_mul_f32 s2, s2, 0x5f7ffffc
	s_wait_alu 0xfffe
	s_mul_f32 s21, s2, 0x2f800000
	s_wait_alu 0xfffe
	s_delay_alu instid0(SALU_CYCLE_2) | instskip(SKIP_1) | instid1(SALU_CYCLE_2)
	s_trunc_f32 s21, s21
	s_wait_alu 0xfffe
	s_fmamk_f32 s2, s21, 0xcf800000, s2
	s_cvt_u32_f32 s23, s21
	s_wait_alu 0xfffe
	s_delay_alu instid0(SALU_CYCLE_1) | instskip(SKIP_1) | instid1(SALU_CYCLE_2)
	s_cvt_u32_f32 s22, s2
	s_wait_alu 0xfffe
	s_mul_u64 s[26:27], s[24:25], s[22:23]
	s_wait_alu 0xfffe
	s_mul_hi_u32 s29, s22, s27
	s_mul_i32 s28, s22, s27
	s_mul_hi_u32 s2, s22, s26
	s_mul_i32 s30, s23, s26
	s_wait_alu 0xfffe
	s_add_nc_u64 s[28:29], s[2:3], s[28:29]
	s_mul_hi_u32 s21, s23, s26
	s_mul_hi_u32 s31, s23, s27
	s_add_co_u32 s2, s28, s30
	s_wait_alu 0xfffe
	s_add_co_ci_u32 s2, s29, s21
	s_mul_i32 s26, s23, s27
	s_add_co_ci_u32 s27, s31, 0
	s_wait_alu 0xfffe
	s_add_nc_u64 s[26:27], s[2:3], s[26:27]
	s_wait_alu 0xfffe
	v_add_co_u32 v2, s2, s22, s26
	s_delay_alu instid0(VALU_DEP_1) | instskip(SKIP_1) | instid1(VALU_DEP_1)
	s_cmp_lg_u32 s2, 0
	s_add_co_ci_u32 s23, s23, s27
	v_readfirstlane_b32 s22, v2
	s_wait_alu 0xfffe
	s_delay_alu instid0(VALU_DEP_1)
	s_mul_u64 s[24:25], s[24:25], s[22:23]
	s_wait_alu 0xfffe
	s_mul_hi_u32 s27, s22, s25
	s_mul_i32 s26, s22, s25
	s_mul_hi_u32 s2, s22, s24
	s_mul_i32 s28, s23, s24
	s_wait_alu 0xfffe
	s_add_nc_u64 s[26:27], s[2:3], s[26:27]
	s_mul_hi_u32 s21, s23, s24
	s_mul_hi_u32 s22, s23, s25
	s_wait_alu 0xfffe
	s_add_co_u32 s2, s26, s28
	s_add_co_ci_u32 s2, s27, s21
	s_mul_i32 s24, s23, s25
	s_add_co_ci_u32 s25, s22, 0
	s_wait_alu 0xfffe
	s_add_nc_u64 s[24:25], s[2:3], s[24:25]
	s_wait_alu 0xfffe
	v_add_co_u32 v2, s2, v2, s24
	s_delay_alu instid0(VALU_DEP_1) | instskip(SKIP_1) | instid1(VALU_DEP_1)
	s_cmp_lg_u32 s2, 0
	s_add_co_ci_u32 s2, s23, s25
	v_mul_hi_u32 v6, v7, v2
	s_wait_alu 0xfffe
	v_mad_co_u64_u32 v[9:10], null, v7, s2, 0
	v_mad_co_u64_u32 v[11:12], null, v8, v2, 0
	;; [unrolled: 1-line block ×3, first 2 shown]
	s_delay_alu instid0(VALU_DEP_3) | instskip(SKIP_1) | instid1(VALU_DEP_4)
	v_add_co_u32 v2, vcc_lo, v6, v9
	s_wait_alu 0xfffd
	v_add_co_ci_u32_e32 v6, vcc_lo, 0, v10, vcc_lo
	s_delay_alu instid0(VALU_DEP_2) | instskip(SKIP_1) | instid1(VALU_DEP_2)
	v_add_co_u32 v2, vcc_lo, v2, v11
	s_wait_alu 0xfffd
	v_add_co_ci_u32_e32 v2, vcc_lo, v6, v12, vcc_lo
	s_wait_alu 0xfffd
	v_add_co_ci_u32_e32 v6, vcc_lo, 0, v14, vcc_lo
	s_delay_alu instid0(VALU_DEP_2) | instskip(SKIP_1) | instid1(VALU_DEP_2)
	v_add_co_u32 v2, vcc_lo, v2, v13
	s_wait_alu 0xfffd
	v_add_co_ci_u32_e32 v6, vcc_lo, 0, v6, vcc_lo
	s_delay_alu instid0(VALU_DEP_2) | instskip(SKIP_1) | instid1(VALU_DEP_3)
	v_mul_lo_u32 v11, s19, v2
	v_mad_co_u64_u32 v[9:10], null, s18, v2, 0
	v_mul_lo_u32 v12, s18, v6
	s_delay_alu instid0(VALU_DEP_2) | instskip(NEXT) | instid1(VALU_DEP_2)
	v_sub_co_u32 v9, vcc_lo, v7, v9
	v_add3_u32 v10, v10, v12, v11
	s_delay_alu instid0(VALU_DEP_1) | instskip(SKIP_1) | instid1(VALU_DEP_1)
	v_sub_nc_u32_e32 v11, v8, v10
	s_wait_alu 0xfffd
	v_subrev_co_ci_u32_e64 v11, s2, s19, v11, vcc_lo
	v_add_co_u32 v12, s2, v2, 2
	s_wait_alu 0xf1ff
	v_add_co_ci_u32_e64 v13, s2, 0, v6, s2
	v_sub_co_u32 v14, s2, v9, s18
	v_sub_co_ci_u32_e32 v10, vcc_lo, v8, v10, vcc_lo
	s_wait_alu 0xf1ff
	v_subrev_co_ci_u32_e64 v11, s2, 0, v11, s2
	s_delay_alu instid0(VALU_DEP_3) | instskip(NEXT) | instid1(VALU_DEP_3)
	v_cmp_le_u32_e32 vcc_lo, s18, v14
	v_cmp_eq_u32_e64 s2, s19, v10
	s_wait_alu 0xfffd
	v_cndmask_b32_e64 v14, 0, -1, vcc_lo
	v_cmp_le_u32_e32 vcc_lo, s19, v11
	s_wait_alu 0xfffd
	v_cndmask_b32_e64 v15, 0, -1, vcc_lo
	v_cmp_le_u32_e32 vcc_lo, s18, v9
	;; [unrolled: 3-line block ×3, first 2 shown]
	s_wait_alu 0xfffd
	v_cndmask_b32_e64 v16, 0, -1, vcc_lo
	v_cmp_eq_u32_e32 vcc_lo, s19, v11
	s_wait_alu 0xf1ff
	s_delay_alu instid0(VALU_DEP_2)
	v_cndmask_b32_e64 v9, v16, v9, s2
	s_wait_alu 0xfffd
	v_cndmask_b32_e32 v11, v15, v14, vcc_lo
	v_add_co_u32 v14, vcc_lo, v2, 1
	s_wait_alu 0xfffd
	v_add_co_ci_u32_e32 v15, vcc_lo, 0, v6, vcc_lo
	s_delay_alu instid0(VALU_DEP_3) | instskip(SKIP_1) | instid1(VALU_DEP_2)
	v_cmp_ne_u32_e32 vcc_lo, 0, v11
	s_wait_alu 0xfffd
	v_dual_cndmask_b32 v10, v15, v13 :: v_dual_cndmask_b32 v11, v14, v12
	v_cmp_ne_u32_e32 vcc_lo, 0, v9
	s_wait_alu 0xfffd
	s_delay_alu instid0(VALU_DEP_2) | instskip(NEXT) | instid1(VALU_DEP_3)
	v_cndmask_b32_e32 v10, v6, v10, vcc_lo
	v_cndmask_b32_e32 v9, v2, v11, vcc_lo
.LBB0_4:                                ;   in Loop: Header=BB0_2 Depth=1
	s_wait_alu 0xfffe
	s_and_not1_saveexec_b32 s2, s20
	s_cbranch_execz .LBB0_6
; %bb.5:                                ;   in Loop: Header=BB0_2 Depth=1
	v_cvt_f32_u32_e32 v2, s18
	s_sub_co_i32 s20, 0, s18
	s_delay_alu instid0(VALU_DEP_1) | instskip(NEXT) | instid1(TRANS32_DEP_1)
	v_rcp_iflag_f32_e32 v2, v2
	v_mul_f32_e32 v2, 0x4f7ffffe, v2
	s_delay_alu instid0(VALU_DEP_1) | instskip(SKIP_1) | instid1(VALU_DEP_1)
	v_cvt_u32_f32_e32 v2, v2
	s_wait_alu 0xfffe
	v_mul_lo_u32 v6, s20, v2
	s_delay_alu instid0(VALU_DEP_1) | instskip(NEXT) | instid1(VALU_DEP_1)
	v_mul_hi_u32 v6, v2, v6
	v_add_nc_u32_e32 v2, v2, v6
	s_delay_alu instid0(VALU_DEP_1) | instskip(NEXT) | instid1(VALU_DEP_1)
	v_mul_hi_u32 v2, v7, v2
	v_mul_lo_u32 v6, v2, s18
	v_add_nc_u32_e32 v9, 1, v2
	s_delay_alu instid0(VALU_DEP_2) | instskip(NEXT) | instid1(VALU_DEP_1)
	v_sub_nc_u32_e32 v6, v7, v6
	v_subrev_nc_u32_e32 v10, s18, v6
	v_cmp_le_u32_e32 vcc_lo, s18, v6
	s_wait_alu 0xfffd
	s_delay_alu instid0(VALU_DEP_2) | instskip(SKIP_2) | instid1(VALU_DEP_3)
	v_cndmask_b32_e32 v6, v6, v10, vcc_lo
	v_mov_b32_e32 v10, v5
	v_cndmask_b32_e32 v2, v2, v9, vcc_lo
	v_cmp_le_u32_e32 vcc_lo, s18, v6
	s_delay_alu instid0(VALU_DEP_2) | instskip(SKIP_1) | instid1(VALU_DEP_1)
	v_add_nc_u32_e32 v9, 1, v2
	s_wait_alu 0xfffd
	v_cndmask_b32_e32 v9, v2, v9, vcc_lo
.LBB0_6:                                ;   in Loop: Header=BB0_2 Depth=1
	s_wait_alu 0xfffe
	s_or_b32 exec_lo, exec_lo, s2
	s_load_b64 s[20:21], s[12:13], 0x0
	v_mul_lo_u32 v2, v10, s18
	v_mul_lo_u32 v6, v9, s19
	v_mad_co_u64_u32 v[11:12], null, v9, s18, 0
	s_add_nc_u64 s[14:15], s[14:15], 1
	s_add_nc_u64 s[12:13], s[12:13], 8
	s_wait_alu 0xfffe
	v_cmp_ge_u64_e64 s2, s[14:15], s[6:7]
	s_add_nc_u64 s[16:17], s[16:17], 8
	s_delay_alu instid0(VALU_DEP_2) | instskip(NEXT) | instid1(VALU_DEP_3)
	v_add3_u32 v2, v12, v6, v2
	v_sub_co_u32 v6, vcc_lo, v7, v11
	s_wait_alu 0xfffd
	s_delay_alu instid0(VALU_DEP_2) | instskip(SKIP_3) | instid1(VALU_DEP_2)
	v_sub_co_ci_u32_e32 v2, vcc_lo, v8, v2, vcc_lo
	s_and_b32 vcc_lo, exec_lo, s2
	s_wait_kmcnt 0x0
	v_mul_lo_u32 v7, s21, v6
	v_mul_lo_u32 v2, s20, v2
	v_mad_co_u64_u32 v[3:4], null, s20, v6, v[3:4]
	s_delay_alu instid0(VALU_DEP_1)
	v_add3_u32 v4, v7, v4, v2
	s_wait_alu 0xfffe
	s_cbranch_vccnz .LBB0_8
; %bb.7:                                ;   in Loop: Header=BB0_2 Depth=1
	v_dual_mov_b32 v7, v9 :: v_dual_mov_b32 v8, v10
	s_branch .LBB0_2
.LBB0_8:
	v_mul_hi_u32 v2, 0x24924925, v1
	s_lshl_b64 s[2:3], s[6:7], 3
	s_load_b64 s[0:1], s[0:1], 0x20
	s_add_nc_u64 s[2:3], s[10:11], s[2:3]
	s_load_b64 s[2:3], s[2:3], 0x0
	s_delay_alu instid0(VALU_DEP_1) | instskip(NEXT) | instid1(VALU_DEP_1)
	v_sub_nc_u32_e32 v5, v1, v2
	v_lshrrev_b32_e32 v5, 1, v5
	s_delay_alu instid0(VALU_DEP_1) | instskip(SKIP_3) | instid1(VALU_DEP_3)
	v_add_nc_u32_e32 v2, v5, v2
	v_mul_hi_u32 v5, 0x7878788, v0
	s_wait_kmcnt 0x0
	v_cmp_gt_u64_e32 vcc_lo, s[0:1], v[9:10]
	v_lshrrev_b32_e32 v2, 2, v2
	v_mul_lo_u32 v7, s2, v10
	v_mul_lo_u32 v8, s3, v9
	s_delay_alu instid0(VALU_DEP_3) | instskip(SKIP_2) | instid1(VALU_DEP_1)
	v_mul_lo_u32 v6, v2, 7
	v_mad_co_u64_u32 v[2:3], null, s2, v9, v[3:4]
	v_mul_u32_u24_e32 v4, 34, v5
	v_sub_nc_u32_e32 v76, v0, v4
	s_delay_alu instid0(VALU_DEP_4) | instskip(NEXT) | instid1(VALU_DEP_4)
	v_sub_nc_u32_e32 v1, v1, v6
	v_add3_u32 v3, v8, v3, v7
	s_delay_alu instid0(VALU_DEP_3) | instskip(NEXT) | instid1(VALU_DEP_3)
	v_lshlrev_b32_e32 v145, 4, v76
	v_mul_u32_u24_e32 v1, 0x133, v1
	s_delay_alu instid0(VALU_DEP_3) | instskip(NEXT) | instid1(VALU_DEP_2)
	v_lshlrev_b64_e32 v[78:79], 4, v[2:3]
	v_lshlrev_b32_e32 v147, 4, v1
	s_and_saveexec_b32 s1, vcc_lo
	s_cbranch_execz .LBB0_10
; %bb.9:
	v_mov_b32_e32 v77, 0
	s_delay_alu instid0(VALU_DEP_3) | instskip(SKIP_2) | instid1(VALU_DEP_3)
	v_add_co_u32 v2, s0, s8, v78
	s_wait_alu 0xf1ff
	v_add_co_ci_u32_e64 v3, s0, s9, v79, s0
	v_lshlrev_b64_e32 v[0:1], 4, v[76:77]
	v_add3_u32 v36, 0, v147, v145
	s_delay_alu instid0(VALU_DEP_2) | instskip(SKIP_1) | instid1(VALU_DEP_3)
	v_add_co_u32 v32, s0, v2, v0
	s_wait_alu 0xf1ff
	v_add_co_ci_u32_e64 v33, s0, v3, v1, s0
	s_clause 0x8
	global_load_b128 v[0:3], v[32:33], off
	global_load_b128 v[4:7], v[32:33], off offset:544
	global_load_b128 v[8:11], v[32:33], off offset:1088
	;; [unrolled: 1-line block ×8, first 2 shown]
	s_wait_loadcnt 0x8
	ds_store_b128 v36, v[0:3]
	s_wait_loadcnt 0x7
	ds_store_b128 v36, v[4:7] offset:544
	s_wait_loadcnt 0x6
	ds_store_b128 v36, v[8:11] offset:1088
	s_wait_loadcnt 0x5
	ds_store_b128 v36, v[12:15] offset:1632
	s_wait_loadcnt 0x4
	ds_store_b128 v36, v[16:19] offset:2176
	s_wait_loadcnt 0x3
	ds_store_b128 v36, v[20:23] offset:2720
	s_wait_loadcnt 0x2
	ds_store_b128 v36, v[24:27] offset:3264
	s_wait_loadcnt 0x1
	ds_store_b128 v36, v[28:31] offset:3808
	s_wait_loadcnt 0x0
	ds_store_b128 v36, v[32:35] offset:4352
.LBB0_10:
	s_wait_alu 0xfffe
	s_or_b32 exec_lo, exec_lo, s1
	v_add3_u32 v77, 0, v145, v147
	global_wb scope:SCOPE_SE
	s_wait_dscnt 0x0
	s_barrier_signal -1
	s_barrier_wait -1
	global_inv scope:SCOPE_SE
	ds_load_b128 v[8:11], v77 offset:4608
	ds_load_b128 v[28:31], v77 offset:288
	v_add_nc_u32_e32 v146, 0, v147
	s_mov_b32 s6, 0xacd6c6b4
	s_mov_b32 s2, 0x7faef3
	;; [unrolled: 1-line block ×4, first 2 shown]
	v_add_nc_u32_e32 v144, v146, v145
	s_mov_b32 s12, 0x5d8e7cdc
	s_mov_b32 s10, 0x370991
	;; [unrolled: 1-line block ×4, first 2 shown]
	ds_load_b128 v[12:15], v144
	ds_load_b128 v[16:19], v77 offset:4320
	ds_load_b128 v[32:35], v77 offset:576
	;; [unrolled: 1-line block ×4, first 2 shown]
	s_mov_b32 s23, 0x3fc7851a
	s_wait_alu 0xfffe
	s_mov_b32 s22, s6
	ds_load_b128 v[24:27], v77 offset:3744
	ds_load_b128 v[48:51], v77 offset:1152
	s_mov_b32 s16, 0x4363dd80
	s_mov_b32 s14, 0x910ea3b9
	;; [unrolled: 1-line block ×3, first 2 shown]
	s_wait_dscnt 0x7
	v_add_f64_e64 v[138:139], v[30:31], -v[10:11]
	v_add_f64_e32 v[140:141], v[30:31], v[10:11]
	v_add_f64_e32 v[136:137], v[28:29], v[8:9]
	v_add_f64_e64 v[142:143], v[28:29], -v[8:9]
	s_mov_b32 s45, 0xbfd71e95
	s_mov_b32 s15, 0xbfeb34fa
	;; [unrolled: 1-line block ×3, first 2 shown]
	ds_load_b128 v[52:55], v77 offset:1440
	ds_load_b128 v[40:43], v77 offset:3456
	s_mov_b32 s42, 0x2a9d6da3
	s_mov_b32 s18, 0x75d4884
	;; [unrolled: 1-line block ×4, first 2 shown]
	s_wait_dscnt 0x6
	v_add_f64_e64 v[86:87], v[34:35], -v[18:19]
	v_add_f64_e32 v[80:81], v[34:35], v[18:19]
	v_add_f64_e32 v[82:83], v[32:33], v[16:17]
	s_wait_dscnt 0x4
	v_add_f64_e64 v[88:89], v[38:39], -v[22:23]
	v_add_f64_e64 v[90:91], v[32:33], -v[16:17]
	v_add_f64_e32 v[84:85], v[38:39], v[22:23]
	v_add_f64_e32 v[94:95], v[36:37], v[20:21]
	v_add_f64_e64 v[112:113], v[36:37], -v[20:21]
	s_wait_dscnt 0x2
	v_add_f64_e64 v[104:105], v[50:51], -v[26:27]
	v_add_f64_e32 v[92:93], v[50:51], v[26:27]
	s_mov_b32 s19, 0x3fe7a5f6
	s_mov_b32 s48, s16
	v_add_f64_e32 v[96:97], v[48:49], v[24:25]
	v_add_f64_e64 v[114:115], v[48:49], -v[24:25]
	s_mov_b32 s24, 0x6c9a05f6
	s_wait_dscnt 0x0
	v_add_f64_e64 v[110:111], v[54:55], -v[42:43]
	v_add_f64_e32 v[98:99], v[54:55], v[42:43]
	s_mov_b32 s20, 0x6ed5f1bb
	s_mov_b32 s31, 0xbfe58eea
	;; [unrolled: 1-line block ×5, first 2 shown]
	v_add_f64_e32 v[100:101], v[52:53], v[40:41]
	v_add_f64_e64 v[122:123], v[52:53], -v[40:41]
	s_mov_b32 s52, 0x7c9e640b
	s_mov_b32 s26, 0x2b2883cd
	v_mul_f64_e32 v[0:1], s[6:7], v[138:139]
	v_mul_f64_e32 v[2:3], s[2:3], v[140:141]
	s_mov_b32 s47, 0x3fe9895b
	s_mov_b32 s53, 0x3feca52d
	;; [unrolled: 1-line block ×3, first 2 shown]
	s_wait_alu 0xfffe
	s_mov_b32 s46, s24
	s_mov_b32 s36, 0x923c349f
	;; [unrolled: 1-line block ×7, first 2 shown]
	v_mul_f64_e32 v[4:5], s[12:13], v[86:87]
	v_mul_f64_e32 v[6:7], s[10:11], v[80:81]
	s_mov_b32 s54, 0xeb564b22
	v_mul_f64_e32 v[56:57], s[16:17], v[88:89]
	s_mov_b32 s34, 0x3259b75e
	;; [unrolled: 2-line block ×3, first 2 shown]
	s_mov_b32 s55, 0x3fefdd0d
	v_mul_f64_e32 v[68:69], s[42:43], v[104:105]
	v_mul_f64_e32 v[70:71], s[18:19], v[92:93]
	s_mov_b32 s35, 0x3fb79ee6
	s_mov_b32 s50, s36
	;; [unrolled: 1-line block ×4, first 2 shown]
	s_mov_b32 s1, exec_lo
	v_fma_f64 v[44:45], v[136:137], s[2:3], v[0:1]
	v_fma_f64 v[46:47], v[142:143], s[22:23], v[2:3]
	v_fma_f64 v[0:1], v[136:137], s[2:3], -v[0:1]
	v_fma_f64 v[2:3], v[142:143], s[6:7], v[2:3]
	v_fma_f64 v[60:61], v[82:83], s[10:11], v[4:5]
	v_fma_f64 v[62:63], v[90:91], s[44:45], v[6:7]
	v_fma_f64 v[4:5], v[82:83], s[10:11], -v[4:5]
	v_fma_f64 v[6:7], v[90:91], s[12:13], v[6:7]
	;; [unrolled: 4-line block ×4, first 2 shown]
	v_add_f64_e32 v[44:45], v[12:13], v[44:45]
	v_add_f64_e32 v[46:47], v[14:15], v[46:47]
	v_add_f64_e32 v[0:1], v[12:13], v[0:1]
	v_add_f64_e32 v[2:3], v[14:15], v[2:3]
	s_delay_alu instid0(VALU_DEP_4) | instskip(NEXT) | instid1(VALU_DEP_4)
	v_add_f64_e32 v[118:119], v[60:61], v[44:45]
	v_add_f64_e32 v[120:121], v[62:63], v[46:47]
	s_delay_alu instid0(VALU_DEP_4) | instskip(NEXT) | instid1(VALU_DEP_4)
	v_add_f64_e32 v[0:1], v[4:5], v[0:1]
	v_add_f64_e32 v[2:3], v[6:7], v[2:3]
	ds_load_b128 v[44:47], v77 offset:3168
	ds_load_b128 v[60:63], v77 offset:1728
	v_mul_f64_e32 v[4:5], s[24:25], v[110:111]
	v_mul_f64_e32 v[6:7], s[20:21], v[98:99]
	ds_load_b128 v[64:67], v77 offset:2016
	ds_load_b128 v[56:59], v77 offset:2880
	s_wait_dscnt 0x2
	v_add_f64_e64 v[116:117], v[62:63], -v[46:47]
	v_add_f64_e32 v[102:103], v[62:63], v[46:47]
	v_add_f64_e64 v[128:129], v[60:61], -v[44:45]
	s_wait_dscnt 0x0
	v_add_f64_e64 v[124:125], v[66:67], -v[58:59]
	v_add_f64_e64 v[132:133], v[64:65], -v[56:57]
	v_add_f64_e32 v[72:73], v[72:73], v[118:119]
	v_add_f64_e32 v[74:75], v[74:75], v[120:121]
	;; [unrolled: 1-line block ×6, first 2 shown]
	v_fma_f64 v[150:151], v[100:101], s[20:21], v[4:5]
	v_fma_f64 v[152:153], v[122:123], s[46:47], v[6:7]
	v_fma_f64 v[4:5], v[100:101], s[20:21], -v[4:5]
	v_fma_f64 v[6:7], v[122:123], s[24:25], v[6:7]
	v_add_f64_e32 v[118:119], v[64:65], v[56:57]
	v_mul_f64_e32 v[134:135], s[52:53], v[116:117]
	v_mul_f64_e32 v[148:149], s[26:27], v[102:103]
	;; [unrolled: 1-line block ×3, first 2 shown]
	v_add_f64_e32 v[126:127], v[126:127], v[72:73]
	v_add_f64_e32 v[154:155], v[130:131], v[74:75]
	;; [unrolled: 1-line block ×4, first 2 shown]
	ds_load_b128 v[72:75], v77 offset:2304
	ds_load_b128 v[68:71], v77 offset:2592
	v_mul_f64_e32 v[158:159], s[28:29], v[108:109]
	global_wb scope:SCOPE_SE
	s_wait_dscnt 0x0
	s_barrier_signal -1
	s_barrier_wait -1
	global_inv scope:SCOPE_SE
	v_add_f64_e64 v[130:131], v[74:75], -v[70:71]
	v_add_f64_e32 v[120:121], v[74:75], v[70:71]
	v_fma_f64 v[160:161], v[106:107], s[26:27], v[134:135]
	v_fma_f64 v[162:163], v[128:129], s[38:39], v[148:149]
	v_fma_f64 v[164:165], v[106:107], s[26:27], -v[134:135]
	v_fma_f64 v[148:149], v[128:129], s[52:53], v[148:149]
	v_add_f64_e64 v[134:135], v[72:73], -v[68:69]
	v_add_f64_e32 v[150:151], v[150:151], v[126:127]
	v_add_f64_e32 v[152:153], v[152:153], v[154:155]
	;; [unrolled: 1-line block ×5, first 2 shown]
	v_fma_f64 v[154:155], v[118:119], s[28:29], v[156:157]
	v_fma_f64 v[166:167], v[132:133], s[50:51], v[158:159]
	v_fma_f64 v[156:157], v[118:119], s[28:29], -v[156:157]
	v_fma_f64 v[158:159], v[132:133], s[36:37], v[158:159]
	v_mul_f64_e32 v[4:5], s[54:55], v[130:131]
	v_mul_f64_e32 v[6:7], s[34:35], v[120:121]
	v_add_f64_e32 v[150:151], v[160:161], v[150:151]
	v_add_f64_e32 v[152:153], v[162:163], v[152:153]
	;; [unrolled: 1-line block ×4, first 2 shown]
	v_fma_f64 v[148:149], v[126:127], s[34:35], v[4:5]
	v_fma_f64 v[160:161], v[134:135], s[40:41], v[6:7]
	v_fma_f64 v[4:5], v[126:127], s[34:35], -v[4:5]
	v_fma_f64 v[6:7], v[134:135], s[54:55], v[6:7]
	v_add_f64_e32 v[150:151], v[154:155], v[150:151]
	v_add_f64_e32 v[152:153], v[166:167], v[152:153]
	;; [unrolled: 1-line block ×4, first 2 shown]
	s_delay_alu instid0(VALU_DEP_4) | instskip(NEXT) | instid1(VALU_DEP_4)
	v_add_f64_e32 v[0:1], v[148:149], v[150:151]
	v_add_f64_e32 v[2:3], v[160:161], v[152:153]
	s_delay_alu instid0(VALU_DEP_4) | instskip(NEXT) | instid1(VALU_DEP_4)
	v_add_f64_e32 v[4:5], v[4:5], v[154:155]
	v_add_f64_e32 v[6:7], v[6:7], v[156:157]
	v_cmpx_gt_u32_e32 18, v76
	s_cbranch_execz .LBB0_12
; %bb.11:
	v_add_f64_e32 v[30:31], v[14:15], v[30:31]
	v_add_f64_e32 v[28:29], v[12:13], v[28:29]
	v_mul_f64_e32 v[158:159], s[36:37], v[134:135]
	v_mul_f64_e32 v[160:161], s[36:37], v[130:131]
	;; [unrolled: 1-line block ×20, first 2 shown]
	v_add_f64_e32 v[30:31], v[30:31], v[34:35]
	v_add_f64_e32 v[28:29], v[28:29], v[32:33]
	s_delay_alu instid0(VALU_DEP_2) | instskip(NEXT) | instid1(VALU_DEP_2)
	v_add_f64_e32 v[30:31], v[30:31], v[38:39]
	v_add_f64_e32 v[28:29], v[28:29], v[36:37]
	s_delay_alu instid0(VALU_DEP_2) | instskip(NEXT) | instid1(VALU_DEP_2)
	v_add_f64_e32 v[30:31], v[30:31], v[50:51]
	v_add_f64_e32 v[28:29], v[28:29], v[48:49]
	v_mul_f64_e32 v[48:49], s[36:37], v[138:139]
	v_mul_f64_e32 v[50:51], s[40:41], v[138:139]
	s_delay_alu instid0(VALU_DEP_4) | instskip(NEXT) | instid1(VALU_DEP_4)
	v_add_f64_e32 v[30:31], v[30:31], v[54:55]
	v_add_f64_e32 v[28:29], v[28:29], v[52:53]
	v_mul_f64_e32 v[52:53], s[38:39], v[138:139]
	v_mul_f64_e32 v[54:55], s[30:31], v[138:139]
	s_delay_alu instid0(VALU_DEP_4) | instskip(NEXT) | instid1(VALU_DEP_4)
	v_add_f64_e32 v[30:31], v[30:31], v[62:63]
	v_add_f64_e32 v[28:29], v[28:29], v[60:61]
	v_fma_f64 v[62:63], v[136:137], s[28:29], -v[48:49]
	v_fma_f64 v[48:49], v[136:137], s[28:29], v[48:49]
	s_delay_alu instid0(VALU_DEP_4) | instskip(NEXT) | instid1(VALU_DEP_4)
	v_add_f64_e32 v[30:31], v[30:31], v[66:67]
	v_add_f64_e32 v[28:29], v[28:29], v[64:65]
	v_fma_f64 v[64:65], v[136:137], s[34:35], -v[50:51]
	v_fma_f64 v[50:51], v[136:137], s[34:35], v[50:51]
	v_fma_f64 v[66:67], v[136:137], s[26:27], -v[52:53]
	v_fma_f64 v[52:53], v[136:137], s[26:27], v[52:53]
	v_add_f64_e32 v[62:63], v[12:13], v[62:63]
	v_add_f64_e32 v[48:49], v[12:13], v[48:49]
	;; [unrolled: 1-line block ×10, first 2 shown]
	v_fma_f64 v[68:69], v[136:137], s[18:19], -v[54:55]
	v_fma_f64 v[54:55], v[136:137], s[18:19], v[54:55]
	s_delay_alu instid0(VALU_DEP_4) | instskip(NEXT) | instid1(VALU_DEP_4)
	v_add_f64_e32 v[30:31], v[30:31], v[58:59]
	v_add_f64_e32 v[28:29], v[28:29], v[56:57]
	v_mul_f64_e32 v[56:57], s[44:45], v[138:139]
	v_add_f64_e32 v[68:69], v[12:13], v[68:69]
	v_add_f64_e32 v[54:55], v[12:13], v[54:55]
	;; [unrolled: 1-line block ×4, first 2 shown]
	v_mul_f64_e32 v[44:45], s[16:17], v[138:139]
	v_mul_f64_e32 v[46:47], s[24:25], v[138:139]
	v_fma_f64 v[70:71], v[136:137], s[10:11], -v[56:57]
	v_fma_f64 v[56:57], v[136:137], s[10:11], v[56:57]
	v_add_f64_e32 v[30:31], v[30:31], v[42:43]
	v_add_f64_e32 v[28:29], v[28:29], v[40:41]
	v_fma_f64 v[58:59], v[136:137], s[14:15], -v[44:45]
	v_fma_f64 v[44:45], v[136:137], s[14:15], v[44:45]
	v_fma_f64 v[60:61], v[136:137], s[20:21], -v[46:47]
	v_fma_f64 v[46:47], v[136:137], s[20:21], v[46:47]
	v_add_f64_e32 v[70:71], v[12:13], v[70:71]
	v_add_f64_e32 v[26:27], v[30:31], v[26:27]
	;; [unrolled: 1-line block ×3, first 2 shown]
	v_mul_f64_e32 v[28:29], s[44:45], v[142:143]
	v_add_f64_e32 v[58:59], v[12:13], v[58:59]
	v_add_f64_e32 v[44:45], v[12:13], v[44:45]
	;; [unrolled: 1-line block ×6, first 2 shown]
	v_mul_f64_e32 v[26:27], s[30:31], v[142:143]
	v_mul_f64_e32 v[24:25], s[38:39], v[142:143]
	v_fma_f64 v[42:43], v[140:141], s[10:11], v[28:29]
	v_fma_f64 v[28:29], v[140:141], s[10:11], -v[28:29]
	v_add_f64_e32 v[18:19], v[22:23], v[18:19]
	v_add_f64_e32 v[16:17], v[20:21], v[16:17]
	v_mul_f64_e32 v[22:23], s[40:41], v[142:143]
	v_mul_f64_e32 v[20:21], s[36:37], v[142:143]
	v_fma_f64 v[40:41], v[140:141], s[18:19], v[26:27]
	v_fma_f64 v[26:27], v[140:141], s[18:19], -v[26:27]
	v_fma_f64 v[38:39], v[140:141], s[26:27], v[24:25]
	v_fma_f64 v[24:25], v[140:141], s[26:27], -v[24:25]
	v_add_f64_e32 v[150:151], v[14:15], v[42:43]
	v_add_f64_e32 v[10:11], v[18:19], v[10:11]
	v_mul_f64_e32 v[18:19], s[24:25], v[142:143]
	v_add_f64_e32 v[8:9], v[16:17], v[8:9]
	v_mul_f64_e32 v[16:17], s[16:17], v[142:143]
	v_fma_f64 v[36:37], v[140:141], s[34:35], v[22:23]
	v_fma_f64 v[22:23], v[140:141], s[34:35], -v[22:23]
	v_fma_f64 v[34:35], v[140:141], s[28:29], v[20:21]
	v_fma_f64 v[20:21], v[140:141], s[28:29], -v[20:21]
	v_add_f64_e32 v[148:149], v[14:15], v[40:41]
	v_add_f64_e32 v[40:41], v[14:15], v[26:27]
	;; [unrolled: 1-line block ×5, first 2 shown]
	v_fma_f64 v[32:33], v[140:141], s[20:21], v[18:19]
	v_fma_f64 v[18:19], v[140:141], s[20:21], -v[18:19]
	v_fma_f64 v[30:31], v[140:141], s[14:15], v[16:17]
	v_fma_f64 v[16:17], v[140:141], s[14:15], -v[16:17]
	v_add_f64_e32 v[138:139], v[14:15], v[22:23]
	v_mul_f64_e32 v[22:23], s[40:41], v[112:113]
	v_add_f64_e32 v[74:75], v[14:15], v[20:21]
	v_mul_f64_e32 v[20:21], s[52:53], v[86:87]
	v_add_f64_e32 v[34:35], v[14:15], v[34:35]
	v_add_f64_e32 v[136:137], v[14:15], v[36:37]
	;; [unrolled: 1-line block ×5, first 2 shown]
	v_mul_f64_e32 v[18:19], s[52:53], v[90:91]
	v_add_f64_e32 v[30:31], v[14:15], v[30:31]
	v_add_f64_e32 v[16:17], v[14:15], v[16:17]
	v_fma_f64 v[28:29], v[84:85], s[34:35], v[22:23]
	v_fma_f64 v[14:15], v[82:83], s[26:27], -v[20:21]
	v_fma_f64 v[12:13], v[80:81], s[26:27], v[18:19]
	v_fma_f64 v[18:19], v[80:81], s[26:27], -v[18:19]
	s_delay_alu instid0(VALU_DEP_3) | instskip(NEXT) | instid1(VALU_DEP_3)
	v_add_f64_e32 v[14:15], v[14:15], v[58:59]
	v_add_f64_e32 v[12:13], v[12:13], v[30:31]
	s_delay_alu instid0(VALU_DEP_3)
	v_add_f64_e32 v[16:17], v[18:19], v[16:17]
	v_fma_f64 v[18:19], v[82:83], s[26:27], v[20:21]
	v_fma_f64 v[20:21], v[84:85], s[34:35], -v[22:23]
	v_fma_f64 v[22:23], v[126:127], s[28:29], v[160:161]
	v_add_f64_e32 v[12:13], v[28:29], v[12:13]
	v_mul_f64_e32 v[28:29], s[40:41], v[88:89]
	v_add_f64_e32 v[18:19], v[18:19], v[44:45]
	v_add_f64_e32 v[16:17], v[20:21], v[16:17]
	s_delay_alu instid0(VALU_DEP_3) | instskip(SKIP_2) | instid1(VALU_DEP_3)
	v_fma_f64 v[30:31], v[94:95], s[34:35], -v[28:29]
	v_fma_f64 v[20:21], v[94:95], s[34:35], v[28:29]
	v_mul_f64_e32 v[28:29], s[50:51], v[90:91]
	v_add_f64_e32 v[14:15], v[30:31], v[14:15]
	v_mul_f64_e32 v[30:31], s[46:47], v[114:115]
	s_delay_alu instid0(VALU_DEP_4) | instskip(NEXT) | instid1(VALU_DEP_2)
	v_add_f64_e32 v[18:19], v[20:21], v[18:19]
	v_fma_f64 v[36:37], v[92:93], s[20:21], v[30:31]
	v_fma_f64 v[20:21], v[92:93], s[20:21], -v[30:31]
	v_mul_f64_e32 v[30:31], s[50:51], v[86:87]
	s_delay_alu instid0(VALU_DEP_3) | instskip(SKIP_1) | instid1(VALU_DEP_4)
	v_add_f64_e32 v[12:13], v[36:37], v[12:13]
	v_mul_f64_e32 v[36:37], s[46:47], v[104:105]
	v_add_f64_e32 v[16:17], v[20:21], v[16:17]
	s_delay_alu instid0(VALU_DEP_2) | instskip(SKIP_1) | instid1(VALU_DEP_2)
	v_fma_f64 v[38:39], v[96:97], s[20:21], -v[36:37]
	v_fma_f64 v[20:21], v[96:97], s[20:21], v[36:37]
	v_add_f64_e32 v[14:15], v[38:39], v[14:15]
	v_mul_f64_e32 v[38:39], s[44:45], v[122:123]
	s_delay_alu instid0(VALU_DEP_3) | instskip(NEXT) | instid1(VALU_DEP_2)
	v_add_f64_e32 v[18:19], v[20:21], v[18:19]
	v_fma_f64 v[42:43], v[98:99], s[10:11], v[38:39]
	v_fma_f64 v[20:21], v[98:99], s[10:11], -v[38:39]
	s_delay_alu instid0(VALU_DEP_2) | instskip(SKIP_1) | instid1(VALU_DEP_3)
	v_add_f64_e32 v[12:13], v[42:43], v[12:13]
	v_mul_f64_e32 v[42:43], s[44:45], v[110:111]
	v_add_f64_e32 v[16:17], v[20:21], v[16:17]
	s_delay_alu instid0(VALU_DEP_2) | instskip(SKIP_1) | instid1(VALU_DEP_2)
	v_fma_f64 v[56:57], v[100:101], s[10:11], -v[42:43]
	v_fma_f64 v[20:21], v[100:101], s[10:11], v[42:43]
	v_add_f64_e32 v[14:15], v[56:57], v[14:15]
	v_mul_f64_e32 v[56:57], s[6:7], v[128:129]
	s_delay_alu instid0(VALU_DEP_3) | instskip(NEXT) | instid1(VALU_DEP_2)
	v_add_f64_e32 v[18:19], v[20:21], v[18:19]
	v_fma_f64 v[58:59], v[102:103], s[2:3], v[56:57]
	v_fma_f64 v[20:21], v[102:103], s[2:3], -v[56:57]
	s_delay_alu instid0(VALU_DEP_2) | instskip(SKIP_1) | instid1(VALU_DEP_3)
	;; [unrolled: 13-line block ×3, first 2 shown]
	v_add_f64_e32 v[12:13], v[154:155], v[12:13]
	v_mul_f64_e32 v[154:155], s[42:43], v[124:125]
	v_add_f64_e32 v[16:17], v[20:21], v[16:17]
	s_delay_alu instid0(VALU_DEP_2) | instskip(SKIP_1) | instid1(VALU_DEP_2)
	v_fma_f64 v[20:21], v[118:119], s[18:19], v[154:155]
	v_fma_f64 v[156:157], v[118:119], s[18:19], -v[154:155]
	v_add_f64_e32 v[20:21], v[20:21], v[18:19]
	v_fma_f64 v[18:19], v[120:121], s[28:29], -v[158:159]
	s_delay_alu instid0(VALU_DEP_3) | instskip(SKIP_2) | instid1(VALU_DEP_4)
	v_add_f64_e32 v[156:157], v[156:157], v[14:15]
	v_fma_f64 v[14:15], v[120:121], s[28:29], v[158:159]
	v_mul_f64_e32 v[158:159], s[52:53], v[134:135]
	v_add_f64_e32 v[18:19], v[18:19], v[16:17]
	v_add_f64_e32 v[16:17], v[22:23], v[20:21]
	v_fma_f64 v[20:21], v[80:81], s[28:29], v[28:29]
	v_fma_f64 v[22:23], v[82:83], s[28:29], -v[30:31]
	v_fma_f64 v[28:29], v[80:81], s[28:29], -v[28:29]
	v_fma_f64 v[30:31], v[82:83], s[28:29], v[30:31]
	v_add_f64_e32 v[14:15], v[14:15], v[12:13]
	v_fma_f64 v[12:13], v[126:127], s[28:29], -v[160:161]
	v_mul_f64_e32 v[160:161], s[52:53], v[130:131]
	v_add_f64_e32 v[20:21], v[20:21], v[32:33]
	v_mul_f64_e32 v[32:33], s[44:45], v[112:113]
	v_add_f64_e32 v[22:23], v[22:23], v[60:61]
	v_add_f64_e32 v[28:29], v[28:29], v[72:73]
	;; [unrolled: 1-line block ×4, first 2 shown]
	v_fma_f64 v[36:37], v[84:85], s[10:11], v[32:33]
	v_fma_f64 v[32:33], v[84:85], s[10:11], -v[32:33]
	s_delay_alu instid0(VALU_DEP_2) | instskip(SKIP_1) | instid1(VALU_DEP_3)
	v_add_f64_e32 v[20:21], v[36:37], v[20:21]
	v_mul_f64_e32 v[36:37], s[44:45], v[88:89]
	v_add_f64_e32 v[28:29], v[32:33], v[28:29]
	s_delay_alu instid0(VALU_DEP_2) | instskip(SKIP_2) | instid1(VALU_DEP_3)
	v_fma_f64 v[38:39], v[94:95], s[10:11], -v[36:37]
	v_fma_f64 v[32:33], v[94:95], s[10:11], v[36:37]
	v_fma_f64 v[36:37], v[126:127], s[26:27], v[160:161]
	v_add_f64_e32 v[22:23], v[38:39], v[22:23]
	v_mul_f64_e32 v[38:39], s[16:17], v[114:115]
	s_delay_alu instid0(VALU_DEP_4) | instskip(NEXT) | instid1(VALU_DEP_2)
	v_add_f64_e32 v[30:31], v[32:33], v[30:31]
	v_fma_f64 v[42:43], v[92:93], s[14:15], v[38:39]
	v_fma_f64 v[32:33], v[92:93], s[14:15], -v[38:39]
	v_mul_f64_e32 v[38:39], s[48:49], v[86:87]
	s_delay_alu instid0(VALU_DEP_3) | instskip(SKIP_1) | instid1(VALU_DEP_4)
	v_add_f64_e32 v[20:21], v[42:43], v[20:21]
	v_mul_f64_e32 v[42:43], s[16:17], v[104:105]
	v_add_f64_e32 v[28:29], v[32:33], v[28:29]
	s_delay_alu instid0(VALU_DEP_2) | instskip(SKIP_2) | instid1(VALU_DEP_3)
	v_fma_f64 v[44:45], v[96:97], s[14:15], -v[42:43]
	v_fma_f64 v[32:33], v[96:97], s[14:15], v[42:43]
	v_mul_f64_e32 v[42:43], s[42:43], v[112:113]
	v_add_f64_e32 v[22:23], v[44:45], v[22:23]
	v_mul_f64_e32 v[44:45], s[54:55], v[122:123]
	s_delay_alu instid0(VALU_DEP_4) | instskip(NEXT) | instid1(VALU_DEP_2)
	v_add_f64_e32 v[30:31], v[32:33], v[30:31]
	v_fma_f64 v[56:57], v[98:99], s[34:35], v[44:45]
	v_fma_f64 v[32:33], v[98:99], s[34:35], -v[44:45]
	v_fma_f64 v[44:45], v[84:85], s[18:19], v[42:43]
	v_fma_f64 v[42:43], v[84:85], s[18:19], -v[42:43]
	s_delay_alu instid0(VALU_DEP_4) | instskip(SKIP_2) | instid1(VALU_DEP_2)
	v_add_f64_e32 v[20:21], v[56:57], v[20:21]
	v_mul_f64_e32 v[56:57], s[54:55], v[110:111]
	v_add_f64_e32 v[28:29], v[32:33], v[28:29]
	v_fma_f64 v[58:59], v[100:101], s[34:35], -v[56:57]
	v_fma_f64 v[32:33], v[100:101], s[34:35], v[56:57]
	s_delay_alu instid0(VALU_DEP_2) | instskip(SKIP_1) | instid1(VALU_DEP_3)
	v_add_f64_e32 v[22:23], v[58:59], v[22:23]
	v_mul_f64_e32 v[58:59], s[30:31], v[128:129]
	v_add_f64_e32 v[30:31], v[32:33], v[30:31]
	s_delay_alu instid0(VALU_DEP_2) | instskip(SKIP_1) | instid1(VALU_DEP_2)
	v_fma_f64 v[60:61], v[102:103], s[18:19], v[58:59]
	v_fma_f64 v[32:33], v[102:103], s[18:19], -v[58:59]
	v_add_f64_e32 v[20:21], v[60:61], v[20:21]
	v_mul_f64_e32 v[60:61], s[30:31], v[116:117]
	s_delay_alu instid0(VALU_DEP_3) | instskip(NEXT) | instid1(VALU_DEP_2)
	v_add_f64_e32 v[28:29], v[32:33], v[28:29]
	v_fma_f64 v[152:153], v[106:107], s[18:19], -v[60:61]
	v_fma_f64 v[32:33], v[106:107], s[18:19], v[60:61]
	s_delay_alu instid0(VALU_DEP_2) | instskip(SKIP_1) | instid1(VALU_DEP_3)
	v_add_f64_e32 v[22:23], v[152:153], v[22:23]
	v_mul_f64_e32 v[152:153], s[6:7], v[132:133]
	v_add_f64_e32 v[30:31], v[32:33], v[30:31]
	s_delay_alu instid0(VALU_DEP_2) | instskip(SKIP_1) | instid1(VALU_DEP_2)
	v_fma_f64 v[154:155], v[108:109], s[2:3], v[152:153]
	v_fma_f64 v[32:33], v[108:109], s[2:3], -v[152:153]
	v_add_f64_e32 v[20:21], v[154:155], v[20:21]
	v_mul_f64_e32 v[154:155], s[6:7], v[124:125]
	s_delay_alu instid0(VALU_DEP_3) | instskip(NEXT) | instid1(VALU_DEP_2)
	v_add_f64_e32 v[28:29], v[32:33], v[28:29]
	v_fma_f64 v[32:33], v[118:119], s[2:3], v[154:155]
	v_fma_f64 v[156:157], v[118:119], s[2:3], -v[154:155]
	s_delay_alu instid0(VALU_DEP_2) | instskip(SKIP_1) | instid1(VALU_DEP_3)
	v_add_f64_e32 v[32:33], v[32:33], v[30:31]
	v_fma_f64 v[30:31], v[120:121], s[26:27], -v[158:159]
	v_add_f64_e32 v[156:157], v[156:157], v[22:23]
	v_fma_f64 v[22:23], v[120:121], s[26:27], v[158:159]
	v_mul_f64_e32 v[158:159], s[24:25], v[134:135]
	s_delay_alu instid0(VALU_DEP_4)
	v_add_f64_e32 v[30:31], v[30:31], v[28:29]
	v_add_f64_e32 v[28:29], v[36:37], v[32:33]
	v_mul_f64_e32 v[36:37], s[48:49], v[90:91]
	v_add_f64_e32 v[22:23], v[22:23], v[20:21]
	v_fma_f64 v[20:21], v[126:127], s[26:27], -v[160:161]
	v_mul_f64_e32 v[160:161], s[24:25], v[130:131]
	s_delay_alu instid0(VALU_DEP_4) | instskip(SKIP_1) | instid1(VALU_DEP_4)
	v_fma_f64 v[32:33], v[80:81], s[14:15], v[36:37]
	v_fma_f64 v[36:37], v[80:81], s[14:15], -v[36:37]
	v_add_f64_e32 v[20:21], v[20:21], v[156:157]
	s_delay_alu instid0(VALU_DEP_3) | instskip(SKIP_1) | instid1(VALU_DEP_4)
	v_add_f64_e32 v[32:33], v[32:33], v[34:35]
	v_fma_f64 v[34:35], v[82:83], s[14:15], -v[38:39]
	v_add_f64_e32 v[36:37], v[36:37], v[74:75]
	v_fma_f64 v[38:39], v[82:83], s[14:15], v[38:39]
	v_mul_f64_e32 v[74:75], s[24:25], v[88:89]
	v_add_f64_e32 v[32:33], v[44:45], v[32:33]
	v_mul_f64_e32 v[44:45], s[42:43], v[88:89]
	v_add_f64_e32 v[34:35], v[34:35], v[62:63]
	v_add_f64_e32 v[38:39], v[38:39], v[48:49]
	v_add_f64_e32 v[36:37], v[42:43], v[36:37]
	s_delay_alu instid0(VALU_DEP_4) | instskip(SKIP_2) | instid1(VALU_DEP_3)
	v_fma_f64 v[46:47], v[94:95], s[18:19], -v[44:45]
	v_fma_f64 v[42:43], v[94:95], s[18:19], v[44:45]
	v_fma_f64 v[44:45], v[126:127], s[20:21], v[160:161]
	v_add_f64_e32 v[34:35], v[46:47], v[34:35]
	v_mul_f64_e32 v[46:47], s[38:39], v[114:115]
	s_delay_alu instid0(VALU_DEP_4) | instskip(NEXT) | instid1(VALU_DEP_2)
	v_add_f64_e32 v[38:39], v[42:43], v[38:39]
	v_fma_f64 v[56:57], v[92:93], s[26:27], v[46:47]
	v_fma_f64 v[42:43], v[92:93], s[26:27], -v[46:47]
	s_delay_alu instid0(VALU_DEP_2) | instskip(SKIP_1) | instid1(VALU_DEP_3)
	v_add_f64_e32 v[32:33], v[56:57], v[32:33]
	v_mul_f64_e32 v[56:57], s[38:39], v[104:105]
	v_add_f64_e32 v[36:37], v[42:43], v[36:37]
	s_delay_alu instid0(VALU_DEP_2) | instskip(SKIP_2) | instid1(VALU_DEP_3)
	v_fma_f64 v[58:59], v[96:97], s[26:27], -v[56:57]
	v_fma_f64 v[42:43], v[96:97], s[26:27], v[56:57]
	v_mul_f64_e32 v[56:57], s[24:25], v[90:91]
	v_add_f64_e32 v[34:35], v[58:59], v[34:35]
	v_mul_f64_e32 v[58:59], s[6:7], v[122:123]
	s_delay_alu instid0(VALU_DEP_4) | instskip(NEXT) | instid1(VALU_DEP_2)
	v_add_f64_e32 v[38:39], v[42:43], v[38:39]
	v_fma_f64 v[60:61], v[98:99], s[2:3], v[58:59]
	v_fma_f64 v[42:43], v[98:99], s[2:3], -v[58:59]
	v_mul_f64_e32 v[58:59], s[24:25], v[86:87]
	s_delay_alu instid0(VALU_DEP_3) | instskip(SKIP_1) | instid1(VALU_DEP_4)
	v_add_f64_e32 v[32:33], v[60:61], v[32:33]
	v_mul_f64_e32 v[60:61], s[6:7], v[110:111]
	v_add_f64_e32 v[36:37], v[42:43], v[36:37]
	s_delay_alu instid0(VALU_DEP_4) | instskip(SKIP_1) | instid1(VALU_DEP_4)
	v_fma_f64 v[46:47], v[82:83], s[20:21], v[58:59]
	v_fma_f64 v[58:59], v[82:83], s[20:21], -v[58:59]
	v_fma_f64 v[62:63], v[100:101], s[2:3], -v[60:61]
	v_fma_f64 v[42:43], v[100:101], s[2:3], v[60:61]
	v_mul_f64_e32 v[60:61], s[40:41], v[90:91]
	v_add_f64_e32 v[46:47], v[46:47], v[52:53]
	v_mul_f64_e32 v[52:53], s[6:7], v[90:91]
	v_add_f64_e32 v[58:59], v[58:59], v[66:67]
	v_fma_f64 v[66:67], v[126:127], s[14:15], -v[192:193]
	v_add_f64_e32 v[34:35], v[62:63], v[34:35]
	v_mul_f64_e32 v[62:63], s[54:55], v[128:129]
	v_add_f64_e32 v[38:39], v[42:43], v[38:39]
	s_delay_alu instid0(VALU_DEP_2) | instskip(SKIP_2) | instid1(VALU_DEP_3)
	v_fma_f64 v[72:73], v[102:103], s[34:35], v[62:63]
	v_fma_f64 v[42:43], v[102:103], s[34:35], -v[62:63]
	v_mul_f64_e32 v[62:63], s[40:41], v[86:87]
	v_add_f64_e32 v[32:33], v[72:73], v[32:33]
	v_mul_f64_e32 v[72:73], s[54:55], v[116:117]
	s_delay_alu instid0(VALU_DEP_4) | instskip(NEXT) | instid1(VALU_DEP_2)
	v_add_f64_e32 v[36:37], v[42:43], v[36:37]
	v_fma_f64 v[152:153], v[106:107], s[34:35], -v[72:73]
	v_fma_f64 v[42:43], v[106:107], s[34:35], v[72:73]
	v_mul_f64_e32 v[72:73], s[24:25], v[112:113]
	s_delay_alu instid0(VALU_DEP_3) | instskip(SKIP_1) | instid1(VALU_DEP_4)
	v_add_f64_e32 v[34:35], v[152:153], v[34:35]
	v_mul_f64_e32 v[152:153], s[44:45], v[132:133]
	v_add_f64_e32 v[38:39], v[42:43], v[38:39]
	s_delay_alu instid0(VALU_DEP_2) | instskip(SKIP_2) | instid1(VALU_DEP_3)
	v_fma_f64 v[154:155], v[108:109], s[10:11], v[152:153]
	v_fma_f64 v[42:43], v[108:109], s[10:11], -v[152:153]
	v_mul_f64_e32 v[152:153], s[6:7], v[114:115]
	v_add_f64_e32 v[32:33], v[154:155], v[32:33]
	v_mul_f64_e32 v[154:155], s[44:45], v[124:125]
	s_delay_alu instid0(VALU_DEP_4) | instskip(NEXT) | instid1(VALU_DEP_2)
	v_add_f64_e32 v[36:37], v[42:43], v[36:37]
	v_fma_f64 v[42:43], v[118:119], s[10:11], v[154:155]
	v_fma_f64 v[156:157], v[118:119], s[10:11], -v[154:155]
	v_mul_f64_e32 v[154:155], s[6:7], v[104:105]
	s_delay_alu instid0(VALU_DEP_3) | instskip(SKIP_1) | instid1(VALU_DEP_4)
	v_add_f64_e32 v[42:43], v[42:43], v[38:39]
	v_fma_f64 v[38:39], v[120:121], s[20:21], -v[158:159]
	v_add_f64_e32 v[156:157], v[156:157], v[34:35]
	v_fma_f64 v[34:35], v[120:121], s[20:21], v[158:159]
	v_mul_f64_e32 v[158:159], s[48:49], v[110:111]
	s_delay_alu instid0(VALU_DEP_4)
	v_add_f64_e32 v[38:39], v[38:39], v[36:37]
	v_add_f64_e32 v[36:37], v[44:45], v[42:43]
	v_fma_f64 v[42:43], v[80:81], s[34:35], -v[60:61]
	v_fma_f64 v[44:45], v[84:85], s[20:21], -v[72:73]
	v_add_f64_e32 v[34:35], v[34:35], v[32:33]
	v_fma_f64 v[32:33], v[126:127], s[20:21], -v[160:161]
	v_mul_f64_e32 v[160:161], s[50:51], v[128:129]
	v_fma_f64 v[60:61], v[80:81], s[34:35], v[60:61]
	v_add_f64_e32 v[40:41], v[42:43], v[40:41]
	v_fma_f64 v[42:43], v[82:83], s[34:35], v[62:63]
	v_fma_f64 v[62:63], v[82:83], s[34:35], -v[62:63]
	v_add_f64_e32 v[32:33], v[32:33], v[156:157]
	v_mul_f64_e32 v[156:157], s[48:49], v[122:123]
	v_add_f64_e32 v[60:61], v[60:61], v[148:149]
	v_add_f64_e32 v[40:41], v[44:45], v[40:41]
	;; [unrolled: 1-line block ×3, first 2 shown]
	v_fma_f64 v[44:45], v[94:95], s[20:21], v[74:75]
	v_mul_f64_e32 v[54:55], s[6:7], v[86:87]
	v_add_f64_e32 v[62:63], v[62:63], v[68:69]
	v_mul_f64_e32 v[68:69], s[30:31], v[90:91]
	s_delay_alu instid0(VALU_DEP_4) | instskip(SKIP_1) | instid1(VALU_DEP_1)
	v_add_f64_e32 v[42:43], v[44:45], v[42:43]
	v_fma_f64 v[44:45], v[92:93], s[2:3], -v[152:153]
	v_add_f64_e32 v[40:41], v[44:45], v[40:41]
	v_fma_f64 v[44:45], v[96:97], s[2:3], v[154:155]
	s_delay_alu instid0(VALU_DEP_1) | instskip(SKIP_1) | instid1(VALU_DEP_1)
	v_add_f64_e32 v[42:43], v[44:45], v[42:43]
	v_fma_f64 v[44:45], v[98:99], s[14:15], -v[156:157]
	v_add_f64_e32 v[40:41], v[44:45], v[40:41]
	v_fma_f64 v[44:45], v[100:101], s[14:15], v[158:159]
	s_delay_alu instid0(VALU_DEP_1) | instskip(SKIP_1) | instid1(VALU_DEP_1)
	;; [unrolled: 5-line block ×4, first 2 shown]
	v_add_f64_e32 v[44:45], v[44:45], v[42:43]
	v_fma_f64 v[42:43], v[120:121], s[10:11], -v[168:169]
	v_add_f64_e32 v[42:43], v[42:43], v[40:41]
	v_fma_f64 v[40:41], v[126:127], s[10:11], v[170:171]
	s_delay_alu instid0(VALU_DEP_1) | instskip(SKIP_2) | instid1(VALU_DEP_2)
	v_add_f64_e32 v[40:41], v[40:41], v[44:45]
	v_fma_f64 v[44:45], v[80:81], s[20:21], -v[56:57]
	v_fma_f64 v[56:57], v[80:81], s[20:21], v[56:57]
	v_add_f64_e32 v[44:45], v[44:45], v[142:143]
	v_mul_f64_e32 v[142:143], s[22:23], v[112:113]
	s_delay_alu instid0(VALU_DEP_3) | instskip(NEXT) | instid1(VALU_DEP_2)
	v_add_f64_e32 v[56:57], v[56:57], v[140:141]
	v_fma_f64 v[48:49], v[84:85], s[2:3], -v[142:143]
	s_delay_alu instid0(VALU_DEP_1) | instskip(SKIP_1) | instid1(VALU_DEP_1)
	v_add_f64_e32 v[44:45], v[48:49], v[44:45]
	v_fma_f64 v[48:49], v[94:95], s[2:3], v[172:173]
	v_add_f64_e32 v[46:47], v[48:49], v[46:47]
	v_fma_f64 v[48:49], v[92:93], s[28:29], -v[174:175]
	s_delay_alu instid0(VALU_DEP_1) | instskip(SKIP_1) | instid1(VALU_DEP_1)
	v_add_f64_e32 v[44:45], v[48:49], v[44:45]
	v_fma_f64 v[48:49], v[96:97], s[28:29], v[176:177]
	v_add_f64_e32 v[46:47], v[48:49], v[46:47]
	v_fma_f64 v[48:49], v[98:99], s[18:19], -v[178:179]
	s_delay_alu instid0(VALU_DEP_1) | instskip(SKIP_1) | instid1(VALU_DEP_1)
	v_add_f64_e32 v[44:45], v[48:49], v[44:45]
	v_fma_f64 v[48:49], v[100:101], s[18:19], v[180:181]
	v_add_f64_e32 v[46:47], v[48:49], v[46:47]
	v_fma_f64 v[48:49], v[102:103], s[10:11], -v[182:183]
	s_delay_alu instid0(VALU_DEP_1) | instskip(SKIP_1) | instid1(VALU_DEP_1)
	v_add_f64_e32 v[44:45], v[48:49], v[44:45]
	v_fma_f64 v[48:49], v[106:107], s[10:11], v[184:185]
	v_add_f64_e32 v[46:47], v[48:49], v[46:47]
	v_fma_f64 v[48:49], v[108:109], s[34:35], -v[186:187]
	s_delay_alu instid0(VALU_DEP_1) | instskip(SKIP_1) | instid1(VALU_DEP_1)
	v_add_f64_e32 v[44:45], v[48:49], v[44:45]
	v_fma_f64 v[48:49], v[118:119], s[34:35], v[188:189]
	v_add_f64_e32 v[48:49], v[48:49], v[46:47]
	v_fma_f64 v[46:47], v[120:121], s[14:15], -v[190:191]
	s_delay_alu instid0(VALU_DEP_1) | instskip(SKIP_1) | instid1(VALU_DEP_1)
	v_add_f64_e32 v[46:47], v[46:47], v[44:45]
	v_fma_f64 v[44:45], v[126:127], s[14:15], v[192:193]
	v_add_f64_e32 v[44:45], v[44:45], v[48:49]
	v_fma_f64 v[48:49], v[80:81], s[2:3], -v[52:53]
	v_fma_f64 v[52:53], v[80:81], s[2:3], v[52:53]
	s_delay_alu instid0(VALU_DEP_2) | instskip(SKIP_2) | instid1(VALU_DEP_4)
	v_add_f64_e32 v[48:49], v[48:49], v[138:139]
	v_fma_f64 v[138:139], v[82:83], s[2:3], v[54:55]
	v_fma_f64 v[54:55], v[82:83], s[2:3], -v[54:55]
	v_add_f64_e32 v[52:53], v[52:53], v[136:137]
	v_fma_f64 v[136:137], v[126:127], s[18:19], -v[216:217]
	s_delay_alu instid0(VALU_DEP_4) | instskip(SKIP_2) | instid1(VALU_DEP_2)
	v_add_f64_e32 v[50:51], v[138:139], v[50:51]
	v_mul_f64_e32 v[138:139], s[50:51], v[112:113]
	v_add_f64_e32 v[54:55], v[54:55], v[64:65]
	v_fma_f64 v[194:195], v[84:85], s[28:29], -v[138:139]
	v_fma_f64 v[64:65], v[84:85], s[28:29], v[138:139]
	s_delay_alu instid0(VALU_DEP_2) | instskip(SKIP_1) | instid1(VALU_DEP_3)
	v_add_f64_e32 v[48:49], v[194:195], v[48:49]
	v_mul_f64_e32 v[194:195], s[50:51], v[88:89]
	v_add_f64_e32 v[52:53], v[64:65], v[52:53]
	s_delay_alu instid0(VALU_DEP_2) | instskip(SKIP_1) | instid1(VALU_DEP_2)
	v_fma_f64 v[196:197], v[94:95], s[28:29], v[194:195]
	v_fma_f64 v[64:65], v[94:95], s[28:29], -v[194:195]
	v_add_f64_e32 v[50:51], v[196:197], v[50:51]
	v_mul_f64_e32 v[196:197], s[12:13], v[114:115]
	s_delay_alu instid0(VALU_DEP_3) | instskip(NEXT) | instid1(VALU_DEP_2)
	v_add_f64_e32 v[54:55], v[64:65], v[54:55]
	v_fma_f64 v[198:199], v[92:93], s[10:11], -v[196:197]
	v_fma_f64 v[64:65], v[92:93], s[10:11], v[196:197]
	s_delay_alu instid0(VALU_DEP_2) | instskip(SKIP_1) | instid1(VALU_DEP_3)
	v_add_f64_e32 v[48:49], v[198:199], v[48:49]
	v_mul_f64_e32 v[198:199], s[12:13], v[104:105]
	v_add_f64_e32 v[52:53], v[64:65], v[52:53]
	s_delay_alu instid0(VALU_DEP_2) | instskip(SKIP_1) | instid1(VALU_DEP_2)
	v_fma_f64 v[200:201], v[96:97], s[10:11], v[198:199]
	v_fma_f64 v[64:65], v[96:97], s[10:11], -v[198:199]
	v_add_f64_e32 v[50:51], v[200:201], v[50:51]
	v_mul_f64_e32 v[200:201], s[38:39], v[122:123]
	s_delay_alu instid0(VALU_DEP_3) | instskip(NEXT) | instid1(VALU_DEP_2)
	;; [unrolled: 13-line block ×4, first 2 shown]
	v_add_f64_e32 v[54:55], v[64:65], v[54:55]
	v_fma_f64 v[210:211], v[108:109], s[20:21], -v[208:209]
	v_fma_f64 v[64:65], v[108:109], s[20:21], v[208:209]
	s_delay_alu instid0(VALU_DEP_2) | instskip(SKIP_1) | instid1(VALU_DEP_3)
	v_add_f64_e32 v[48:49], v[210:211], v[48:49]
	v_mul_f64_e32 v[210:211], s[46:47], v[124:125]
	v_add_f64_e32 v[52:53], v[64:65], v[52:53]
	s_delay_alu instid0(VALU_DEP_2) | instskip(SKIP_1) | instid1(VALU_DEP_2)
	v_fma_f64 v[64:65], v[118:119], s[20:21], -v[210:211]
	v_fma_f64 v[212:213], v[118:119], s[20:21], v[210:211]
	v_add_f64_e32 v[64:65], v[64:65], v[54:55]
	v_fma_f64 v[54:55], v[120:121], s[18:19], v[214:215]
	s_delay_alu instid0(VALU_DEP_3) | instskip(SKIP_1) | instid1(VALU_DEP_3)
	v_add_f64_e32 v[212:213], v[212:213], v[50:51]
	v_fma_f64 v[50:51], v[120:121], s[18:19], -v[214:215]
	v_add_f64_e32 v[54:55], v[54:55], v[52:53]
	v_add_f64_e32 v[52:53], v[136:137], v[64:65]
	v_fma_f64 v[64:65], v[84:85], s[2:3], v[142:143]
	s_delay_alu instid0(VALU_DEP_4) | instskip(SKIP_1) | instid1(VALU_DEP_3)
	v_add_f64_e32 v[50:51], v[50:51], v[48:49]
	v_fma_f64 v[48:49], v[126:127], s[18:19], v[216:217]
	v_add_f64_e32 v[56:57], v[64:65], v[56:57]
	v_fma_f64 v[64:65], v[94:95], s[2:3], -v[172:173]
	s_delay_alu instid0(VALU_DEP_3) | instskip(NEXT) | instid1(VALU_DEP_2)
	v_add_f64_e32 v[48:49], v[48:49], v[212:213]
	v_add_f64_e32 v[58:59], v[64:65], v[58:59]
	v_fma_f64 v[64:65], v[92:93], s[28:29], v[174:175]
	s_delay_alu instid0(VALU_DEP_1) | instskip(SKIP_1) | instid1(VALU_DEP_1)
	v_add_f64_e32 v[56:57], v[64:65], v[56:57]
	v_fma_f64 v[64:65], v[96:97], s[28:29], -v[176:177]
	v_add_f64_e32 v[58:59], v[64:65], v[58:59]
	v_fma_f64 v[64:65], v[98:99], s[18:19], v[178:179]
	s_delay_alu instid0(VALU_DEP_1) | instskip(SKIP_1) | instid1(VALU_DEP_1)
	v_add_f64_e32 v[56:57], v[64:65], v[56:57]
	v_fma_f64 v[64:65], v[100:101], s[18:19], -v[180:181]
	;; [unrolled: 5-line block ×4, first 2 shown]
	v_add_f64_e32 v[64:65], v[64:65], v[58:59]
	v_fma_f64 v[58:59], v[120:121], s[14:15], v[190:191]
	s_delay_alu instid0(VALU_DEP_1) | instskip(NEXT) | instid1(VALU_DEP_3)
	v_add_f64_e32 v[58:59], v[58:59], v[56:57]
	v_add_f64_e32 v[56:57], v[66:67], v[64:65]
	v_fma_f64 v[64:65], v[84:85], s[20:21], v[72:73]
	v_fma_f64 v[66:67], v[126:127], s[10:11], -v[170:171]
	v_mul_f64_e32 v[72:73], s[30:31], v[86:87]
	s_delay_alu instid0(VALU_DEP_3) | instskip(SKIP_1) | instid1(VALU_DEP_1)
	v_add_f64_e32 v[60:61], v[64:65], v[60:61]
	v_fma_f64 v[64:65], v[94:95], s[20:21], -v[74:75]
	v_add_f64_e32 v[62:63], v[64:65], v[62:63]
	v_fma_f64 v[64:65], v[92:93], s[2:3], v[152:153]
	s_delay_alu instid0(VALU_DEP_1) | instskip(SKIP_1) | instid1(VALU_DEP_1)
	v_add_f64_e32 v[60:61], v[64:65], v[60:61]
	v_fma_f64 v[64:65], v[96:97], s[2:3], -v[154:155]
	v_add_f64_e32 v[62:63], v[64:65], v[62:63]
	v_fma_f64 v[64:65], v[98:99], s[14:15], v[156:157]
	s_delay_alu instid0(VALU_DEP_1) | instskip(SKIP_1) | instid1(VALU_DEP_1)
	;; [unrolled: 5-line block ×4, first 2 shown]
	v_add_f64_e32 v[60:61], v[64:65], v[60:61]
	v_fma_f64 v[64:65], v[118:119], s[26:27], -v[166:167]
	v_add_f64_e32 v[64:65], v[64:65], v[62:63]
	v_fma_f64 v[62:63], v[120:121], s[10:11], v[168:169]
	s_delay_alu instid0(VALU_DEP_1) | instskip(NEXT) | instid1(VALU_DEP_3)
	v_add_f64_e32 v[62:63], v[62:63], v[60:61]
	v_add_f64_e32 v[60:61], v[66:67], v[64:65]
	v_fma_f64 v[66:67], v[82:83], s[18:19], -v[72:73]
	v_fma_f64 v[64:65], v[80:81], s[18:19], v[68:69]
	v_fma_f64 v[68:69], v[80:81], s[18:19], -v[68:69]
	v_fma_f64 v[72:73], v[82:83], s[18:19], v[72:73]
	s_delay_alu instid0(VALU_DEP_4) | instskip(SKIP_4) | instid1(VALU_DEP_4)
	v_add_f64_e32 v[66:67], v[66:67], v[70:71]
	v_mul_f64_e32 v[70:71], s[38:39], v[112:113]
	v_add_f64_e32 v[64:65], v[64:65], v[150:151]
	v_add_f64_e32 v[24:25], v[68:69], v[24:25]
	;; [unrolled: 1-line block ×3, first 2 shown]
	v_fma_f64 v[74:75], v[84:85], s[26:27], v[70:71]
	v_fma_f64 v[70:71], v[84:85], s[26:27], -v[70:71]
	s_delay_alu instid0(VALU_DEP_2) | instskip(SKIP_1) | instid1(VALU_DEP_3)
	v_add_f64_e32 v[64:65], v[74:75], v[64:65]
	v_mul_f64_e32 v[74:75], s[38:39], v[88:89]
	v_add_f64_e32 v[24:25], v[70:71], v[24:25]
	s_delay_alu instid0(VALU_DEP_2) | instskip(SKIP_1) | instid1(VALU_DEP_2)
	v_fma_f64 v[86:87], v[94:95], s[26:27], -v[74:75]
	v_fma_f64 v[74:75], v[94:95], s[26:27], v[74:75]
	v_add_f64_e32 v[66:67], v[86:87], v[66:67]
	v_mul_f64_e32 v[86:87], s[40:41], v[114:115]
	s_delay_alu instid0(VALU_DEP_3) | instskip(NEXT) | instid1(VALU_DEP_2)
	v_add_f64_e32 v[26:27], v[74:75], v[26:27]
	v_fma_f64 v[88:89], v[92:93], s[34:35], v[86:87]
	v_fma_f64 v[68:69], v[92:93], s[34:35], -v[86:87]
	s_delay_alu instid0(VALU_DEP_2) | instskip(SKIP_1) | instid1(VALU_DEP_3)
	v_add_f64_e32 v[64:65], v[88:89], v[64:65]
	v_mul_f64_e32 v[88:89], s[40:41], v[104:105]
	v_add_f64_e32 v[24:25], v[68:69], v[24:25]
	s_delay_alu instid0(VALU_DEP_2) | instskip(SKIP_1) | instid1(VALU_DEP_2)
	v_fma_f64 v[90:91], v[96:97], s[34:35], -v[88:89]
	v_fma_f64 v[70:71], v[96:97], s[34:35], v[88:89]
	v_add_f64_e32 v[66:67], v[90:91], v[66:67]
	v_mul_f64_e32 v[90:91], s[36:37], v[122:123]
	s_delay_alu instid0(VALU_DEP_3) | instskip(NEXT) | instid1(VALU_DEP_2)
	v_add_f64_e32 v[26:27], v[70:71], v[26:27]
	v_fma_f64 v[104:105], v[98:99], s[28:29], v[90:91]
	v_fma_f64 v[68:69], v[98:99], s[28:29], -v[90:91]
	s_delay_alu instid0(VALU_DEP_2) | instskip(SKIP_1) | instid1(VALU_DEP_3)
	v_add_f64_e32 v[64:65], v[104:105], v[64:65]
	v_mul_f64_e32 v[104:105], s[36:37], v[110:111]
	v_add_f64_e32 v[24:25], v[68:69], v[24:25]
	s_delay_alu instid0(VALU_DEP_2) | instskip(SKIP_1) | instid1(VALU_DEP_2)
	v_fma_f64 v[110:111], v[100:101], s[28:29], -v[104:105]
	v_fma_f64 v[70:71], v[100:101], s[28:29], v[104:105]
	v_add_f64_e32 v[66:67], v[110:111], v[66:67]
	v_mul_f64_e32 v[110:111], s[24:25], v[128:129]
	s_delay_alu instid0(VALU_DEP_3) | instskip(SKIP_1) | instid1(VALU_DEP_3)
	v_add_f64_e32 v[26:27], v[70:71], v[26:27]
	v_mul_f64_e32 v[128:129], s[6:7], v[130:131]
	v_fma_f64 v[112:113], v[102:103], s[20:21], v[110:111]
	v_fma_f64 v[68:69], v[102:103], s[20:21], -v[110:111]
	s_delay_alu instid0(VALU_DEP_2) | instskip(SKIP_1) | instid1(VALU_DEP_3)
	v_add_f64_e32 v[64:65], v[112:113], v[64:65]
	v_mul_f64_e32 v[112:113], s[24:25], v[116:117]
	v_add_f64_e32 v[24:25], v[68:69], v[24:25]
	s_delay_alu instid0(VALU_DEP_2) | instskip(SKIP_1) | instid1(VALU_DEP_2)
	v_fma_f64 v[114:115], v[106:107], s[20:21], -v[112:113]
	v_fma_f64 v[70:71], v[106:107], s[20:21], v[112:113]
	v_add_f64_e32 v[66:67], v[114:115], v[66:67]
	v_mul_f64_e32 v[114:115], s[16:17], v[132:133]
	s_delay_alu instid0(VALU_DEP_3) | instskip(NEXT) | instid1(VALU_DEP_2)
	v_add_f64_e32 v[26:27], v[70:71], v[26:27]
	v_fma_f64 v[116:117], v[108:109], s[14:15], v[114:115]
	v_fma_f64 v[68:69], v[108:109], s[14:15], -v[114:115]
	s_delay_alu instid0(VALU_DEP_2) | instskip(SKIP_2) | instid1(VALU_DEP_4)
	v_add_f64_e32 v[64:65], v[116:117], v[64:65]
	v_mul_f64_e32 v[116:117], s[16:17], v[124:125]
	v_mul_f64_e32 v[124:125], s[6:7], v[134:135]
	v_add_f64_e32 v[24:25], v[68:69], v[24:25]
	s_delay_alu instid0(VALU_DEP_3) | instskip(SKIP_1) | instid1(VALU_DEP_2)
	v_fma_f64 v[122:123], v[118:119], s[14:15], -v[116:117]
	v_fma_f64 v[70:71], v[118:119], s[14:15], v[116:117]
	v_add_f64_e32 v[122:123], v[122:123], v[66:67]
	v_fma_f64 v[66:67], v[120:121], s[2:3], v[124:125]
	s_delay_alu instid0(VALU_DEP_3) | instskip(SKIP_2) | instid1(VALU_DEP_4)
	v_add_f64_e32 v[68:69], v[70:71], v[26:27]
	v_fma_f64 v[26:27], v[120:121], s[2:3], -v[124:125]
	v_fma_f64 v[70:71], v[126:127], s[2:3], v[128:129]
	v_add_f64_e32 v[66:67], v[66:67], v[64:65]
	v_fma_f64 v[64:65], v[126:127], s[2:3], -v[128:129]
	s_delay_alu instid0(VALU_DEP_4) | instskip(NEXT) | instid1(VALU_DEP_4)
	v_add_f64_e32 v[26:27], v[26:27], v[24:25]
	v_add_f64_e32 v[24:25], v[70:71], v[68:69]
	v_mul_u32_u24_e32 v68, 0x110, v76
	s_delay_alu instid0(VALU_DEP_1)
	v_add3_u32 v68, 0, v68, v147
	v_add_f64_e32 v[64:65], v[64:65], v[122:123]
	ds_store_b128 v68, v[40:43] offset:32
	ds_store_b128 v68, v[44:47] offset:48
	;; [unrolled: 1-line block ×14, first 2 shown]
	ds_store_b128 v68, v[8:11]
	ds_store_b128 v68, v[0:3] offset:128
	ds_store_b128 v68, v[4:7] offset:144
.LBB0_12:
	s_wait_alu 0xfffe
	s_or_b32 exec_lo, exec_lo, s1
	global_wb scope:SCOPE_SE
	s_wait_dscnt 0x0
	s_barrier_signal -1
	s_barrier_wait -1
	global_inv scope:SCOPE_SE
	ds_load_b128 v[12:15], v144
	ds_load_b128 v[16:19], v77 offset:544
	ds_load_b128 v[28:31], v77 offset:2448
	;; [unrolled: 1-line block ×7, first 2 shown]
	v_cmp_gt_u32_e64 s0, 17, v76
	s_delay_alu instid0(VALU_DEP_1)
	s_and_saveexec_b32 s1, s0
	s_cbranch_execz .LBB0_14
; %bb.13:
	ds_load_b128 v[0:3], v77 offset:2176
	ds_load_b128 v[4:7], v77 offset:4624
.LBB0_14:
	s_wait_alu 0xfffe
	s_or_b32 exec_lo, exec_lo, s1
	v_add_nc_u16 v43, v76, 0x44
	v_add_nc_u16 v42, v76, 34
	;; [unrolled: 1-line block ×3, first 2 shown]
	s_delay_alu instid0(VALU_DEP_3) | instskip(NEXT) | instid1(VALU_DEP_3)
	v_and_b32_e32 v41, 0xff, v43
	v_and_b32_e32 v40, 0xff, v42
	s_delay_alu instid0(VALU_DEP_3) | instskip(NEXT) | instid1(VALU_DEP_3)
	v_and_b32_e32 v45, 0xff, v44
	v_mul_lo_u16 v41, 0xf1, v41
	s_delay_alu instid0(VALU_DEP_2) | instskip(NEXT) | instid1(VALU_DEP_2)
	v_mul_lo_u16 v45, 0xf1, v45
	v_lshrrev_b16 v67, 12, v41
	v_mov_b32_e32 v41, 0
	v_mul_lo_u16 v40, 0xf1, v40
	s_delay_alu instid0(VALU_DEP_4) | instskip(NEXT) | instid1(VALU_DEP_4)
	v_lshrrev_b16 v68, 12, v45
	v_mul_lo_u16 v46, v67, 17
	s_delay_alu instid0(VALU_DEP_3) | instskip(SKIP_1) | instid1(VALU_DEP_4)
	v_lshrrev_b16 v66, 12, v40
	v_subrev_nc_u32_e32 v40, 17, v76
	v_mul_lo_u16 v47, v68, 17
	s_delay_alu instid0(VALU_DEP_4) | instskip(NEXT) | instid1(VALU_DEP_4)
	v_sub_nc_u16 v46, v43, v46
	v_mul_lo_u16 v45, v66, 17
	s_delay_alu instid0(VALU_DEP_4) | instskip(NEXT) | instid1(VALU_DEP_4)
	v_cndmask_b32_e64 v40, v40, v76, s0
	v_sub_nc_u16 v44, v44, v47
	s_delay_alu instid0(VALU_DEP_4) | instskip(NEXT) | instid1(VALU_DEP_4)
	v_and_b32_e32 v46, 0xff, v46
	v_sub_nc_u16 v45, v42, v45
	s_delay_alu instid0(VALU_DEP_4) | instskip(NEXT) | instid1(VALU_DEP_4)
	v_lshlrev_b64_e32 v[42:43], 4, v[40:41]
	v_and_b32_e32 v47, 0xff, v44
	s_delay_alu instid0(VALU_DEP_4)
	v_lshlrev_b32_e32 v70, 4, v46
	v_lshlrev_b32_e32 v40, 4, v40
	v_and_b32_e32 v45, 0xff, v45
	v_add_co_u32 v42, s1, s4, v42
	s_wait_alu 0xf1ff
	v_add_co_ci_u32_e64 v43, s1, s5, v43, s1
	s_delay_alu instid0(VALU_DEP_3)
	v_lshlrev_b32_e32 v69, 4, v45
	v_lshlrev_b32_e32 v71, 4, v47
	v_cmp_lt_u32_e64 s1, 16, v76
	s_clause 0x3
	global_load_b128 v[42:45], v[42:43], off
	global_load_b128 v[46:49], v69, s[4:5]
	global_load_b128 v[50:53], v70, s[4:5]
	;; [unrolled: 1-line block ×3, first 2 shown]
	global_wb scope:SCOPE_SE
	s_wait_loadcnt_dscnt 0x0
	s_barrier_signal -1
	s_barrier_wait -1
	global_inv scope:SCOPE_SE
	v_mul_f64_e32 v[58:59], v[30:31], v[44:45]
	v_mul_f64_e32 v[44:45], v[28:29], v[44:45]
	;; [unrolled: 1-line block ×8, first 2 shown]
	v_fma_f64 v[28:29], v[28:29], v[42:43], v[58:59]
	v_fma_f64 v[30:31], v[30:31], v[42:43], -v[44:45]
	v_fma_f64 v[42:43], v[24:25], v[46:47], v[60:61]
	v_fma_f64 v[44:45], v[26:27], v[46:47], -v[48:49]
	v_fma_f64 v[36:37], v[36:37], v[50:51], v[62:63]
	v_fma_f64 v[38:39], v[38:39], v[50:51], -v[52:53]
	v_fma_f64 v[46:47], v[32:33], v[54:55], v[64:65]
	v_fma_f64 v[48:49], v[34:35], v[54:55], -v[56:57]
	v_add_f64_e64 v[24:25], v[12:13], -v[28:29]
	v_add_f64_e64 v[26:27], v[14:15], -v[30:31]
	v_add_f64_e64 v[28:29], v[16:17], -v[42:43]
	v_add_f64_e64 v[30:31], v[18:19], -v[44:45]
	v_add_f64_e64 v[32:33], v[20:21], -v[36:37]
	v_add_f64_e64 v[34:35], v[22:23], -v[38:39]
	v_add_f64_e64 v[36:37], v[8:9], -v[46:47]
	v_add_f64_e64 v[38:39], v[10:11], -v[48:49]
	s_wait_alu 0xf1ff
	v_cndmask_b32_e64 v42, 0, 0x220, s1
	v_and_b32_e32 v43, 0xffff, v66
	v_and_b32_e32 v44, 0xffff, v67
	;; [unrolled: 1-line block ×3, first 2 shown]
	s_delay_alu instid0(VALU_DEP_4) | instskip(NEXT) | instid1(VALU_DEP_1)
	v_add_nc_u32_e32 v42, 0, v42
	v_add3_u32 v40, v42, v40, v147
	v_mad_u32_u24 v42, 0x220, v43, 0
	v_mad_u32_u24 v43, 0x220, v44, 0
	;; [unrolled: 1-line block ×3, first 2 shown]
	s_delay_alu instid0(VALU_DEP_3) | instskip(NEXT) | instid1(VALU_DEP_3)
	v_add3_u32 v42, v42, v69, v147
	v_add3_u32 v43, v43, v70, v147
	s_delay_alu instid0(VALU_DEP_3)
	v_add3_u32 v44, v44, v71, v147
	v_fma_f64 v[12:13], v[12:13], 2.0, -v[24:25]
	v_fma_f64 v[14:15], v[14:15], 2.0, -v[26:27]
	;; [unrolled: 1-line block ×8, first 2 shown]
	ds_store_b128 v40, v[12:15]
	ds_store_b128 v40, v[24:27] offset:272
	ds_store_b128 v42, v[16:19]
	ds_store_b128 v42, v[28:31] offset:272
	;; [unrolled: 2-line block ×4, first 2 shown]
	s_and_saveexec_b32 s1, s0
	s_cbranch_execz .LBB0_16
; %bb.15:
	v_add_nc_u16 v8, v76, 0x88
	s_delay_alu instid0(VALU_DEP_1) | instskip(NEXT) | instid1(VALU_DEP_1)
	v_and_b32_e32 v9, 0xff, v8
	v_mul_lo_u16 v9, 0xf1, v9
	s_delay_alu instid0(VALU_DEP_1) | instskip(NEXT) | instid1(VALU_DEP_1)
	v_lshrrev_b16 v9, 12, v9
	v_mul_lo_u16 v9, v9, 17
	s_delay_alu instid0(VALU_DEP_1) | instskip(NEXT) | instid1(VALU_DEP_1)
	v_sub_nc_u16 v8, v8, v9
	v_and_b32_e32 v8, 0xff, v8
	s_delay_alu instid0(VALU_DEP_1) | instskip(SKIP_4) | instid1(VALU_DEP_2)
	v_lshlrev_b32_e32 v14, 4, v8
	global_load_b128 v[8:11], v14, s[4:5]
	s_wait_loadcnt 0x0
	v_mul_f64_e32 v[12:13], v[4:5], v[10:11]
	v_mul_f64_e32 v[10:11], v[6:7], v[10:11]
	v_fma_f64 v[6:7], v[6:7], v[8:9], -v[12:13]
	s_delay_alu instid0(VALU_DEP_2) | instskip(SKIP_1) | instid1(VALU_DEP_3)
	v_fma_f64 v[4:5], v[4:5], v[8:9], v[10:11]
	v_add3_u32 v8, 0, v14, v147
	v_add_f64_e64 v[6:7], v[2:3], -v[6:7]
	s_delay_alu instid0(VALU_DEP_3) | instskip(NEXT) | instid1(VALU_DEP_2)
	v_add_f64_e64 v[4:5], v[0:1], -v[4:5]
	v_fma_f64 v[2:3], v[2:3], 2.0, -v[6:7]
	s_delay_alu instid0(VALU_DEP_2)
	v_fma_f64 v[0:1], v[0:1], 2.0, -v[4:5]
	ds_store_b128 v8, v[0:3] offset:4352
	ds_store_b128 v8, v[4:7] offset:4624
.LBB0_16:
	s_wait_alu 0xfffe
	s_or_b32 exec_lo, exec_lo, s1
	v_lshlrev_b32_e32 v40, 3, v76
	global_wb scope:SCOPE_SE
	s_wait_dscnt 0x0
	s_barrier_signal -1
	s_barrier_wait -1
	global_inv scope:SCOPE_SE
	v_lshlrev_b64_e32 v[0:1], 4, v[40:41]
	s_mov_b32 s2, 0x8c811c17
	s_mov_b32 s10, 0xa2cf5039
	;; [unrolled: 1-line block ×5, first 2 shown]
	v_add_co_u32 v28, s1, s4, v0
	s_wait_alu 0xf1ff
	v_add_co_ci_u32_e64 v29, s1, s5, v1, s1
	s_mov_b32 s11, 0x3fe8836f
	s_mov_b32 s12, 0x42522d1b
	s_mov_b32 s13, 0xbfee11f6
	s_clause 0x7
	global_load_b128 v[0:3], v[28:29], off offset:272
	global_load_b128 v[4:7], v[28:29], off offset:384
	;; [unrolled: 1-line block ×8, first 2 shown]
	ds_load_b128 v[32:35], v77 offset:544
	ds_load_b128 v[36:39], v77 offset:4352
	ds_load_b128 v[40:43], v77 offset:1088
	ds_load_b128 v[44:47], v77 offset:2176
	ds_load_b128 v[48:51], v77 offset:2720
	ds_load_b128 v[52:55], v77 offset:3808
	ds_load_b128 v[56:59], v77 offset:1632
	s_wait_loadcnt_dscnt 0x706
	v_mul_f64_e32 v[60:61], v[34:35], v[2:3]
	v_mul_f64_e32 v[2:3], v[32:33], v[2:3]
	s_wait_loadcnt_dscnt 0x605
	v_mul_f64_e32 v[62:63], v[38:39], v[6:7]
	v_mul_f64_e32 v[6:7], v[36:37], v[6:7]
	;; [unrolled: 3-line block ×3, first 2 shown]
	s_wait_loadcnt_dscnt 0x403
	v_mul_f64_e32 v[66:67], v[46:47], v[14:15]
	s_wait_loadcnt_dscnt 0x302
	v_mul_f64_e32 v[68:69], v[50:51], v[18:19]
	v_mul_f64_e32 v[14:15], v[44:45], v[14:15]
	;; [unrolled: 1-line block ×3, first 2 shown]
	s_wait_loadcnt_dscnt 0x201
	v_mul_f64_e32 v[70:71], v[54:55], v[22:23]
	v_mul_f64_e32 v[22:23], v[52:53], v[22:23]
	v_fma_f64 v[32:33], v[32:33], v[0:1], v[60:61]
	v_fma_f64 v[34:35], v[34:35], v[0:1], -v[2:3]
	v_fma_f64 v[36:37], v[36:37], v[4:5], v[62:63]
	v_fma_f64 v[4:5], v[38:39], v[4:5], -v[6:7]
	;; [unrolled: 2-line block ×3, first 2 shown]
	v_fma_f64 v[10:11], v[44:45], v[12:13], v[66:67]
	v_fma_f64 v[40:41], v[48:49], v[16:17], v[68:69]
	v_fma_f64 v[12:13], v[46:47], v[12:13], -v[14:15]
	v_fma_f64 v[14:15], v[50:51], v[16:17], -v[18:19]
	v_fma_f64 v[16:17], v[52:53], v[20:21], v[70:71]
	v_fma_f64 v[18:19], v[54:55], v[20:21], -v[22:23]
	ds_load_b128 v[0:3], v77 offset:3264
	s_wait_loadcnt_dscnt 0x101
	v_mul_f64_e32 v[20:21], v[58:59], v[26:27]
	v_mul_f64_e32 v[22:23], v[56:57], v[26:27]
	v_add_f64_e64 v[42:43], v[32:33], -v[36:37]
	v_add_f64_e64 v[44:45], v[34:35], -v[4:5]
	v_add_f64_e32 v[34:35], v[34:35], v[4:5]
	ds_load_b128 v[4:7], v144
	s_wait_loadcnt_dscnt 0x1
	v_mul_f64_e32 v[26:27], v[2:3], v[30:31]
	v_mul_f64_e32 v[30:31], v[0:1], v[30:31]
	v_add_f64_e32 v[32:33], v[32:33], v[36:37]
	v_add_f64_e32 v[36:37], v[10:11], v[40:41]
	v_add_f64_e64 v[46:47], v[10:11], -v[40:41]
	v_add_f64_e64 v[48:49], v[12:13], -v[14:15]
	v_add_f64_e32 v[50:51], v[38:39], v[16:17]
	v_add_f64_e32 v[52:53], v[8:9], v[18:19]
	;; [unrolled: 1-line block ×3, first 2 shown]
	v_fma_f64 v[20:21], v[56:57], v[24:25], v[20:21]
	v_fma_f64 v[22:23], v[58:59], v[24:25], -v[22:23]
	v_add_f64_e64 v[16:17], v[38:39], -v[16:17]
	v_add_f64_e64 v[8:9], v[8:9], -v[18:19]
	global_wb scope:SCOPE_SE
	s_wait_dscnt 0x0
	s_barrier_signal -1
	s_barrier_wait -1
	global_inv scope:SCOPE_SE
	s_wait_alu 0xfffe
	v_mul_f64_e32 v[18:19], s[6:7], v[42:43]
	v_mul_f64_e32 v[24:25], s[6:7], v[44:45]
	s_mov_b32 s7, 0xbfe491b7
	v_fma_f64 v[0:1], v[0:1], v[28:29], v[26:27]
	v_fma_f64 v[2:3], v[2:3], v[28:29], -v[30:31]
	v_fma_f64 v[26:27], v[32:33], s[10:11], v[4:5]
	v_fma_f64 v[28:29], v[34:35], s[10:11], v[6:7]
	;; [unrolled: 1-line block ×3, first 2 shown]
	v_mul_f64_e32 v[38:39], s[2:3], v[46:47]
	v_mul_f64_e32 v[56:57], s[2:3], v[48:49]
	v_fma_f64 v[58:59], v[50:51], s[10:11], v[4:5]
	v_fma_f64 v[60:61], v[52:53], s[10:11], v[6:7]
	;; [unrolled: 1-line block ×3, first 2 shown]
	s_wait_alu 0xfffe
	v_mul_f64_e32 v[64:65], s[6:7], v[48:49]
	v_mul_f64_e32 v[66:67], s[6:7], v[46:47]
	v_add_f64_e32 v[72:73], v[50:51], v[32:33]
	v_add_f64_e32 v[74:75], v[52:53], v[34:35]
	s_mov_b32 s10, 0x7e0b738b
	s_mov_b32 s11, 0x3fc63a1a
	v_fma_f64 v[18:19], v[16:17], s[2:3], v[18:19]
	v_add_f64_e32 v[68:69], v[20:21], v[0:1]
	v_add_f64_e32 v[70:71], v[22:23], v[2:3]
	v_add_f64_e64 v[0:1], v[20:21], -v[0:1]
	v_add_f64_e64 v[2:3], v[22:23], -v[2:3]
	v_fma_f64 v[20:21], v[8:9], s[2:3], v[24:25]
	s_wait_alu 0xfffe
	v_fma_f64 v[22:23], v[50:51], s[10:11], v[26:27]
	v_fma_f64 v[24:25], v[52:53], s[10:11], v[28:29]
	;; [unrolled: 1-line block ×3, first 2 shown]
	v_fma_f64 v[28:29], v[16:17], s[6:7], -v[38:39]
	v_fma_f64 v[30:31], v[8:9], s[6:7], -v[56:57]
	v_fma_f64 v[38:39], v[36:37], s[10:11], v[58:59]
	v_fma_f64 v[56:57], v[54:55], s[10:11], v[60:61]
	;; [unrolled: 1-line block ×5, first 2 shown]
	v_add_f64_e32 v[84:85], v[36:37], v[72:73]
	v_add_f64_e32 v[86:87], v[54:55], v[74:75]
	s_mov_b32 s2, 0xe8584cab
	s_mov_b32 s3, 0x3febb67a
	;; [unrolled: 1-line block ×3, first 2 shown]
	s_wait_alu 0xfffe
	s_mov_b32 s6, s2
	v_add_f64_e32 v[64:65], v[46:47], v[42:43]
	v_add_f64_e32 v[66:67], v[48:49], v[44:45]
	s_mov_b32 s10, 0x748a0bf8
	s_mov_b32 s11, 0x3fd5e3a8
	v_add_f64_e32 v[72:73], v[68:69], v[72:73]
	v_add_f64_e32 v[74:75], v[70:71], v[74:75]
	v_fma_f64 v[18:19], v[0:1], s[2:3], v[18:19]
	v_add_f64_e32 v[80:81], v[4:5], v[68:69]
	v_fma_f64 v[20:21], v[2:3], s[2:3], v[20:21]
	v_fma_f64 v[22:23], v[68:69], -0.5, v[22:23]
	v_fma_f64 v[24:25], v[70:71], -0.5, v[24:25]
	;; [unrolled: 1-line block ×3, first 2 shown]
	v_fma_f64 v[28:29], v[0:1], s[2:3], v[28:29]
	v_fma_f64 v[30:31], v[2:3], s[2:3], v[30:31]
	v_fma_f64 v[38:39], v[68:69], -0.5, v[38:39]
	v_fma_f64 v[56:57], v[70:71], -0.5, v[56:57]
	v_add_f64_e32 v[82:83], v[6:7], v[70:71]
	v_fma_f64 v[58:59], v[70:71], -0.5, v[58:59]
	s_wait_alu 0xfffe
	v_fma_f64 v[2:3], v[2:3], s[6:7], v[60:61]
	v_fma_f64 v[0:1], v[0:1], s[6:7], v[62:63]
	v_add_f64_e64 v[60:61], v[64:65], -v[16:17]
	v_add_f64_e64 v[62:63], v[66:67], -v[8:9]
	v_add_f64_e32 v[10:11], v[10:11], v[72:73]
	v_add_f64_e32 v[12:13], v[12:13], v[74:75]
	v_fma_f64 v[46:47], v[46:47], s[10:11], v[18:19]
	v_fma_f64 v[64:65], v[84:85], -0.5, v[80:81]
	v_fma_f64 v[48:49], v[48:49], s[10:11], v[20:21]
	v_fma_f64 v[18:19], v[36:37], s[12:13], v[22:23]
	;; [unrolled: 1-line block ×8, first 2 shown]
	v_fma_f64 v[66:67], v[86:87], -0.5, v[82:83]
	v_fma_f64 v[32:33], v[52:53], s[12:13], v[58:59]
	v_fma_f64 v[34:35], v[8:9], s[10:11], v[2:3]
	;; [unrolled: 1-line block ×3, first 2 shown]
	v_mul_f64_e32 v[38:39], s[2:3], v[60:61]
	v_mul_f64_e32 v[42:43], s[2:3], v[62:63]
	v_add_f64_e32 v[40:41], v[40:41], v[10:11]
	v_add_f64_e32 v[44:45], v[14:15], v[12:13]
	v_fma_f64 v[0:1], v[62:63], s[6:7], v[64:65]
	v_add_f64_e64 v[8:9], v[18:19], -v[48:49]
	v_add_f64_e32 v[10:11], v[46:47], v[20:21]
	v_add_f64_e64 v[12:13], v[24:25], -v[28:29]
	v_add_f64_e32 v[14:15], v[26:27], v[30:31]
	v_fma_f64 v[2:3], v[60:61], s[2:3], v[66:67]
	s_mov_b32 s2, exec_lo
	v_add_f64_e64 v[16:17], v[22:23], -v[34:35]
	v_add_f64_e32 v[18:19], v[36:37], v[32:33]
	v_add_f64_e32 v[4:5], v[4:5], v[40:41]
	;; [unrolled: 1-line block ×3, first 2 shown]
	v_fma_f64 v[20:21], v[42:43], 2.0, v[0:1]
	v_fma_f64 v[24:25], v[48:49], 2.0, v[8:9]
	;; [unrolled: 1-line block ×3, first 2 shown]
	v_fma_f64 v[30:31], v[26:27], -2.0, v[14:15]
	v_fma_f64 v[26:27], v[46:47], -2.0, v[10:11]
	;; [unrolled: 1-line block ×3, first 2 shown]
	v_fma_f64 v[32:33], v[34:35], 2.0, v[16:17]
	v_fma_f64 v[34:35], v[36:37], -2.0, v[18:19]
	ds_store_b128 v77, v[4:7]
	ds_store_b128 v77, v[8:11] offset:544
	ds_store_b128 v77, v[16:19] offset:1088
	ds_store_b128 v77, v[0:3] offset:1632
	ds_store_b128 v77, v[12:15] offset:2176
	ds_store_b128 v77, v[28:31] offset:2720
	ds_store_b128 v77, v[24:27] offset:4352
	ds_store_b128 v77, v[20:23] offset:3264
	ds_store_b128 v77, v[32:35] offset:3808
	global_wb scope:SCOPE_SE
	s_wait_dscnt 0x0
	s_barrier_signal -1
	s_barrier_wait -1
	global_inv scope:SCOPE_SE
	ds_load_b128 v[0:3], v144
	v_sub_nc_u32_e32 v10, v146, v145
                                        ; implicit-def: $vgpr6_vgpr7
                                        ; implicit-def: $vgpr4_vgpr5
                                        ; implicit-def: $vgpr8_vgpr9
	v_cmpx_ne_u32_e32 0, v76
	s_wait_alu 0xfffe
	s_xor_b32 s2, exec_lo, s2
	s_cbranch_execz .LBB0_18
; %bb.17:
	v_mov_b32_e32 v77, 0
	ds_load_b128 v[11:14], v10 offset:4896
                                        ; implicit-def: $vgpr146
	v_lshlrev_b64_e32 v[4:5], 4, v[76:77]
	s_delay_alu instid0(VALU_DEP_1) | instskip(SKIP_1) | instid1(VALU_DEP_2)
	v_add_co_u32 v4, s1, s4, v4
	s_wait_alu 0xf1ff
	v_add_co_ci_u32_e64 v5, s1, s5, v5, s1
	global_load_b128 v[6:9], v[4:5], off offset:4624
	s_wait_dscnt 0x0
	v_add_f64_e64 v[4:5], v[0:1], -v[11:12]
	v_add_f64_e32 v[15:16], v[2:3], v[13:14]
	v_add_f64_e64 v[2:3], v[2:3], -v[13:14]
	v_add_f64_e32 v[0:1], v[0:1], v[11:12]
	s_delay_alu instid0(VALU_DEP_4) | instskip(NEXT) | instid1(VALU_DEP_4)
	v_mul_f64_e32 v[4:5], 0.5, v[4:5]
	v_mul_f64_e32 v[13:14], 0.5, v[15:16]
	s_delay_alu instid0(VALU_DEP_4) | instskip(SKIP_1) | instid1(VALU_DEP_3)
	v_mul_f64_e32 v[2:3], 0.5, v[2:3]
	s_wait_loadcnt 0x0
	v_mul_f64_e32 v[11:12], v[4:5], v[8:9]
	s_delay_alu instid0(VALU_DEP_2) | instskip(SKIP_1) | instid1(VALU_DEP_3)
	v_fma_f64 v[15:16], v[13:14], v[8:9], v[2:3]
	v_fma_f64 v[2:3], v[13:14], v[8:9], -v[2:3]
	v_fma_f64 v[8:9], v[0:1], 0.5, v[11:12]
	v_fma_f64 v[0:1], v[0:1], 0.5, -v[11:12]
	s_delay_alu instid0(VALU_DEP_4) | instskip(NEXT) | instid1(VALU_DEP_4)
	v_fma_f64 v[11:12], -v[6:7], v[4:5], v[15:16]
	v_fma_f64 v[2:3], -v[6:7], v[4:5], v[2:3]
	ds_store_b64 v144, v[11:12] offset:8
	ds_store_b64 v10, v[2:3] offset:4904
	v_fma_f64 v[4:5], v[13:14], v[6:7], v[8:9]
	v_fma_f64 v[6:7], -v[13:14], v[6:7], v[0:1]
	v_dual_mov_b32 v8, v76 :: v_dual_mov_b32 v9, v77
                                        ; implicit-def: $vgpr0_vgpr1
.LBB0_18:
	s_wait_alu 0xfffe
	s_and_not1_saveexec_b32 s1, s2
	s_cbranch_execz .LBB0_20
; %bb.19:
	s_wait_dscnt 0x0
	v_add_f64_e32 v[4:5], v[0:1], v[2:3]
	v_add_f64_e64 v[6:7], v[0:1], -v[2:3]
	s_mov_b32 s2, 0
	v_mov_b32_e32 v8, 0
	s_wait_alu 0xfffe
	s_mov_b32 s3, s2
	s_wait_alu 0xfffe
	v_dual_mov_b32 v0, s2 :: v_dual_mov_b32 v1, s3
	v_mov_b32_e32 v9, 0
	ds_store_b64 v144, v[0:1] offset:8
	ds_store_b64 v10, v[0:1] offset:4904
	ds_load_b64 v[0:1], v146 offset:2456
	s_wait_dscnt 0x0
	v_xor_b32_e32 v1, 0x80000000, v1
	ds_store_b64 v146, v[0:1] offset:2456
.LBB0_20:
	s_wait_alu 0xfffe
	s_or_b32 exec_lo, exec_lo, s1
	s_wait_dscnt 0x0
	v_lshlrev_b64_e32 v[0:1], 4, v[8:9]
	s_add_nc_u64 s[2:3], s[4:5], 0x1210
	s_wait_alu 0xfffe
	s_delay_alu instid0(VALU_DEP_1) | instskip(SKIP_1) | instid1(VALU_DEP_2)
	v_add_co_u32 v2, s1, s2, v0
	s_wait_alu 0xf1ff
	v_add_co_ci_u32_e64 v3, s1, s3, v1, s1
	s_clause 0x1
	global_load_b128 v[11:14], v[2:3], off offset:544
	global_load_b128 v[15:18], v[2:3], off offset:1088
	ds_store_b64 v144, v[4:5]
	ds_store_b64 v10, v[6:7] offset:4896
	ds_load_b128 v[4:7], v144 offset:544
	ds_load_b128 v[19:22], v10 offset:4352
	s_wait_dscnt 0x0
	v_add_f64_e64 v[8:9], v[4:5], -v[19:20]
	v_add_f64_e32 v[23:24], v[6:7], v[21:22]
	v_add_f64_e64 v[6:7], v[6:7], -v[21:22]
	v_add_f64_e32 v[4:5], v[4:5], v[19:20]
	s_delay_alu instid0(VALU_DEP_4) | instskip(NEXT) | instid1(VALU_DEP_4)
	v_mul_f64_e32 v[8:9], 0.5, v[8:9]
	v_mul_f64_e32 v[21:22], 0.5, v[23:24]
	s_delay_alu instid0(VALU_DEP_4) | instskip(SKIP_1) | instid1(VALU_DEP_3)
	v_mul_f64_e32 v[6:7], 0.5, v[6:7]
	s_wait_loadcnt 0x1
	v_mul_f64_e32 v[19:20], v[8:9], v[13:14]
	s_delay_alu instid0(VALU_DEP_2) | instskip(SKIP_1) | instid1(VALU_DEP_3)
	v_fma_f64 v[23:24], v[21:22], v[13:14], v[6:7]
	v_fma_f64 v[13:14], v[21:22], v[13:14], -v[6:7]
	v_fma_f64 v[25:26], v[4:5], 0.5, v[19:20]
	v_fma_f64 v[19:20], v[4:5], 0.5, -v[19:20]
	s_delay_alu instid0(VALU_DEP_4) | instskip(NEXT) | instid1(VALU_DEP_4)
	v_fma_f64 v[6:7], -v[11:12], v[8:9], v[23:24]
	v_fma_f64 v[13:14], -v[11:12], v[8:9], v[13:14]
	s_delay_alu instid0(VALU_DEP_4) | instskip(NEXT) | instid1(VALU_DEP_4)
	v_fma_f64 v[4:5], v[21:22], v[11:12], v[25:26]
	v_fma_f64 v[11:12], -v[21:22], v[11:12], v[19:20]
	global_load_b128 v[19:22], v[2:3], off offset:1632
	ds_store_b128 v144, v[4:7] offset:544
	ds_store_b128 v10, v[11:14] offset:4352
	ds_load_b128 v[4:7], v144 offset:1088
	ds_load_b128 v[11:14], v10 offset:3808
	s_wait_dscnt 0x0
	v_add_f64_e64 v[8:9], v[4:5], -v[11:12]
	v_add_f64_e32 v[23:24], v[6:7], v[13:14]
	v_add_f64_e64 v[6:7], v[6:7], -v[13:14]
	v_add_f64_e32 v[4:5], v[4:5], v[11:12]
	s_delay_alu instid0(VALU_DEP_4) | instskip(NEXT) | instid1(VALU_DEP_4)
	v_mul_f64_e32 v[8:9], 0.5, v[8:9]
	v_mul_f64_e32 v[23:24], 0.5, v[23:24]
	s_delay_alu instid0(VALU_DEP_4) | instskip(SKIP_1) | instid1(VALU_DEP_3)
	v_mul_f64_e32 v[6:7], 0.5, v[6:7]
	s_wait_loadcnt 0x1
	v_mul_f64_e32 v[11:12], v[8:9], v[17:18]
	s_delay_alu instid0(VALU_DEP_2) | instskip(SKIP_1) | instid1(VALU_DEP_3)
	v_fma_f64 v[13:14], v[23:24], v[17:18], v[6:7]
	v_fma_f64 v[17:18], v[23:24], v[17:18], -v[6:7]
	v_fma_f64 v[25:26], v[4:5], 0.5, v[11:12]
	v_fma_f64 v[11:12], v[4:5], 0.5, -v[11:12]
	s_delay_alu instid0(VALU_DEP_4) | instskip(NEXT) | instid1(VALU_DEP_4)
	v_fma_f64 v[6:7], -v[15:16], v[8:9], v[13:14]
	v_fma_f64 v[13:14], -v[15:16], v[8:9], v[17:18]
	s_delay_alu instid0(VALU_DEP_4) | instskip(NEXT) | instid1(VALU_DEP_4)
	v_fma_f64 v[4:5], v[23:24], v[15:16], v[25:26]
	v_fma_f64 v[11:12], -v[23:24], v[15:16], v[11:12]
	ds_store_b128 v144, v[4:7] offset:1088
	ds_store_b128 v10, v[11:14] offset:3808
	ds_load_b128 v[4:7], v144 offset:1632
	ds_load_b128 v[11:14], v10 offset:3264
	s_wait_dscnt 0x0
	v_add_f64_e64 v[8:9], v[4:5], -v[11:12]
	v_add_f64_e32 v[15:16], v[6:7], v[13:14]
	v_add_f64_e64 v[6:7], v[6:7], -v[13:14]
	v_add_f64_e32 v[4:5], v[4:5], v[11:12]
	s_delay_alu instid0(VALU_DEP_4) | instskip(NEXT) | instid1(VALU_DEP_4)
	v_mul_f64_e32 v[8:9], 0.5, v[8:9]
	v_mul_f64_e32 v[15:16], 0.5, v[15:16]
	s_delay_alu instid0(VALU_DEP_4) | instskip(SKIP_1) | instid1(VALU_DEP_3)
	v_mul_f64_e32 v[6:7], 0.5, v[6:7]
	s_wait_loadcnt 0x0
	v_mul_f64_e32 v[11:12], v[8:9], v[21:22]
	s_delay_alu instid0(VALU_DEP_2) | instskip(SKIP_1) | instid1(VALU_DEP_3)
	v_fma_f64 v[13:14], v[15:16], v[21:22], v[6:7]
	v_fma_f64 v[17:18], v[15:16], v[21:22], -v[6:7]
	v_fma_f64 v[21:22], v[4:5], 0.5, v[11:12]
	v_fma_f64 v[11:12], v[4:5], 0.5, -v[11:12]
	s_delay_alu instid0(VALU_DEP_4) | instskip(NEXT) | instid1(VALU_DEP_4)
	v_fma_f64 v[6:7], -v[19:20], v[8:9], v[13:14]
	v_fma_f64 v[13:14], -v[19:20], v[8:9], v[17:18]
	s_delay_alu instid0(VALU_DEP_4) | instskip(NEXT) | instid1(VALU_DEP_4)
	v_fma_f64 v[4:5], v[15:16], v[19:20], v[21:22]
	v_fma_f64 v[11:12], -v[15:16], v[19:20], v[11:12]
	ds_store_b128 v144, v[4:7] offset:1632
	ds_store_b128 v10, v[11:14] offset:3264
	s_and_saveexec_b32 s1, s0
	s_cbranch_execz .LBB0_22
; %bb.21:
	global_load_b128 v[2:5], v[2:3], off offset:2176
	ds_load_b128 v[6:9], v144 offset:2176
	ds_load_b128 v[11:14], v10 offset:2720
	s_wait_dscnt 0x0
	v_add_f64_e64 v[15:16], v[6:7], -v[11:12]
	v_add_f64_e32 v[17:18], v[8:9], v[13:14]
	v_add_f64_e64 v[8:9], v[8:9], -v[13:14]
	v_add_f64_e32 v[6:7], v[6:7], v[11:12]
	s_delay_alu instid0(VALU_DEP_4) | instskip(NEXT) | instid1(VALU_DEP_4)
	v_mul_f64_e32 v[13:14], 0.5, v[15:16]
	v_mul_f64_e32 v[15:16], 0.5, v[17:18]
	s_delay_alu instid0(VALU_DEP_4) | instskip(SKIP_1) | instid1(VALU_DEP_3)
	v_mul_f64_e32 v[8:9], 0.5, v[8:9]
	s_wait_loadcnt 0x0
	v_mul_f64_e32 v[11:12], v[13:14], v[4:5]
	s_delay_alu instid0(VALU_DEP_2) | instskip(SKIP_1) | instid1(VALU_DEP_3)
	v_fma_f64 v[17:18], v[15:16], v[4:5], v[8:9]
	v_fma_f64 v[4:5], v[15:16], v[4:5], -v[8:9]
	v_fma_f64 v[8:9], v[6:7], 0.5, v[11:12]
	v_fma_f64 v[11:12], v[6:7], 0.5, -v[11:12]
	s_delay_alu instid0(VALU_DEP_4) | instskip(NEXT) | instid1(VALU_DEP_4)
	v_fma_f64 v[6:7], -v[2:3], v[13:14], v[17:18]
	v_fma_f64 v[13:14], -v[2:3], v[13:14], v[4:5]
	s_delay_alu instid0(VALU_DEP_4) | instskip(NEXT) | instid1(VALU_DEP_4)
	v_fma_f64 v[4:5], v[15:16], v[2:3], v[8:9]
	v_fma_f64 v[11:12], -v[15:16], v[2:3], v[11:12]
	ds_store_b128 v144, v[4:7] offset:2176
	ds_store_b128 v10, v[11:14] offset:2720
.LBB0_22:
	s_wait_alu 0xfffe
	s_or_b32 exec_lo, exec_lo, s1
	global_wb scope:SCOPE_SE
	s_wait_dscnt 0x0
	s_barrier_signal -1
	s_barrier_wait -1
	global_inv scope:SCOPE_SE
	s_and_saveexec_b32 s0, vcc_lo
	s_cbranch_execz .LBB0_25
; %bb.23:
	ds_load_b128 v[4:7], v144
	ds_load_b128 v[8:11], v144 offset:544
	ds_load_b128 v[12:15], v144 offset:1088
	;; [unrolled: 1-line block ×8, first 2 shown]
	v_add_co_u32 v2, vcc_lo, s8, v78
	s_wait_alu 0xfffd
	v_add_co_ci_u32_e32 v3, vcc_lo, s9, v79, vcc_lo
	s_delay_alu instid0(VALU_DEP_2) | instskip(SKIP_1) | instid1(VALU_DEP_2)
	v_add_co_u32 v0, vcc_lo, v2, v0
	s_wait_alu 0xfffd
	v_add_co_ci_u32_e32 v1, vcc_lo, v3, v1, vcc_lo
	v_cmp_eq_u32_e32 vcc_lo, 33, v76
	s_wait_dscnt 0x8
	global_store_b128 v[0:1], v[4:7], off
	s_wait_dscnt 0x7
	global_store_b128 v[0:1], v[8:11], off offset:544
	s_wait_dscnt 0x6
	global_store_b128 v[0:1], v[12:15], off offset:1088
	;; [unrolled: 2-line block ×8, first 2 shown]
	s_and_b32 exec_lo, exec_lo, vcc_lo
	s_cbranch_execz .LBB0_25
; %bb.24:
	ds_load_b128 v[4:7], v144 offset:4368
	s_wait_dscnt 0x0
	global_store_b128 v[2:3], v[4:7], off offset:4896
.LBB0_25:
	s_nop 0
	s_sendmsg sendmsg(MSG_DEALLOC_VGPRS)
	s_endpgm
	.section	.rodata,"a",@progbits
	.p2align	6, 0x0
	.amdhsa_kernel fft_rtc_back_len306_factors_17_2_9_wgs_238_tpt_34_halfLds_dp_ip_CI_unitstride_sbrr_R2C_dirReg
		.amdhsa_group_segment_fixed_size 0
		.amdhsa_private_segment_fixed_size 0
		.amdhsa_kernarg_size 88
		.amdhsa_user_sgpr_count 2
		.amdhsa_user_sgpr_dispatch_ptr 0
		.amdhsa_user_sgpr_queue_ptr 0
		.amdhsa_user_sgpr_kernarg_segment_ptr 1
		.amdhsa_user_sgpr_dispatch_id 0
		.amdhsa_user_sgpr_private_segment_size 0
		.amdhsa_wavefront_size32 1
		.amdhsa_uses_dynamic_stack 0
		.amdhsa_enable_private_segment 0
		.amdhsa_system_sgpr_workgroup_id_x 1
		.amdhsa_system_sgpr_workgroup_id_y 0
		.amdhsa_system_sgpr_workgroup_id_z 0
		.amdhsa_system_sgpr_workgroup_info 0
		.amdhsa_system_vgpr_workitem_id 0
		.amdhsa_next_free_vgpr 218
		.amdhsa_next_free_sgpr 56
		.amdhsa_reserve_vcc 1
		.amdhsa_float_round_mode_32 0
		.amdhsa_float_round_mode_16_64 0
		.amdhsa_float_denorm_mode_32 3
		.amdhsa_float_denorm_mode_16_64 3
		.amdhsa_fp16_overflow 0
		.amdhsa_workgroup_processor_mode 1
		.amdhsa_memory_ordered 1
		.amdhsa_forward_progress 0
		.amdhsa_round_robin_scheduling 0
		.amdhsa_exception_fp_ieee_invalid_op 0
		.amdhsa_exception_fp_denorm_src 0
		.amdhsa_exception_fp_ieee_div_zero 0
		.amdhsa_exception_fp_ieee_overflow 0
		.amdhsa_exception_fp_ieee_underflow 0
		.amdhsa_exception_fp_ieee_inexact 0
		.amdhsa_exception_int_div_zero 0
	.end_amdhsa_kernel
	.text
.Lfunc_end0:
	.size	fft_rtc_back_len306_factors_17_2_9_wgs_238_tpt_34_halfLds_dp_ip_CI_unitstride_sbrr_R2C_dirReg, .Lfunc_end0-fft_rtc_back_len306_factors_17_2_9_wgs_238_tpt_34_halfLds_dp_ip_CI_unitstride_sbrr_R2C_dirReg
                                        ; -- End function
	.section	.AMDGPU.csdata,"",@progbits
; Kernel info:
; codeLenInByte = 10860
; NumSgprs: 58
; NumVgprs: 218
; ScratchSize: 0
; MemoryBound: 0
; FloatMode: 240
; IeeeMode: 1
; LDSByteSize: 0 bytes/workgroup (compile time only)
; SGPRBlocks: 7
; VGPRBlocks: 27
; NumSGPRsForWavesPerEU: 58
; NumVGPRsForWavesPerEU: 218
; Occupancy: 6
; WaveLimiterHint : 1
; COMPUTE_PGM_RSRC2:SCRATCH_EN: 0
; COMPUTE_PGM_RSRC2:USER_SGPR: 2
; COMPUTE_PGM_RSRC2:TRAP_HANDLER: 0
; COMPUTE_PGM_RSRC2:TGID_X_EN: 1
; COMPUTE_PGM_RSRC2:TGID_Y_EN: 0
; COMPUTE_PGM_RSRC2:TGID_Z_EN: 0
; COMPUTE_PGM_RSRC2:TIDIG_COMP_CNT: 0
	.text
	.p2alignl 7, 3214868480
	.fill 96, 4, 3214868480
	.type	__hip_cuid_b4f2c28e8a0c9742,@object ; @__hip_cuid_b4f2c28e8a0c9742
	.section	.bss,"aw",@nobits
	.globl	__hip_cuid_b4f2c28e8a0c9742
__hip_cuid_b4f2c28e8a0c9742:
	.byte	0                               ; 0x0
	.size	__hip_cuid_b4f2c28e8a0c9742, 1

	.ident	"AMD clang version 19.0.0git (https://github.com/RadeonOpenCompute/llvm-project roc-6.4.0 25133 c7fe45cf4b819c5991fe208aaa96edf142730f1d)"
	.section	".note.GNU-stack","",@progbits
	.addrsig
	.addrsig_sym __hip_cuid_b4f2c28e8a0c9742
	.amdgpu_metadata
---
amdhsa.kernels:
  - .args:
      - .actual_access:  read_only
        .address_space:  global
        .offset:         0
        .size:           8
        .value_kind:     global_buffer
      - .offset:         8
        .size:           8
        .value_kind:     by_value
      - .actual_access:  read_only
        .address_space:  global
        .offset:         16
        .size:           8
        .value_kind:     global_buffer
      - .actual_access:  read_only
        .address_space:  global
        .offset:         24
        .size:           8
        .value_kind:     global_buffer
      - .offset:         32
        .size:           8
        .value_kind:     by_value
      - .actual_access:  read_only
        .address_space:  global
        .offset:         40
        .size:           8
        .value_kind:     global_buffer
      - .actual_access:  read_only
        .address_space:  global
        .offset:         48
        .size:           8
        .value_kind:     global_buffer
      - .offset:         56
        .size:           4
        .value_kind:     by_value
      - .actual_access:  read_only
        .address_space:  global
        .offset:         64
        .size:           8
        .value_kind:     global_buffer
      - .actual_access:  read_only
        .address_space:  global
        .offset:         72
        .size:           8
        .value_kind:     global_buffer
      - .address_space:  global
        .offset:         80
        .size:           8
        .value_kind:     global_buffer
    .group_segment_fixed_size: 0
    .kernarg_segment_align: 8
    .kernarg_segment_size: 88
    .language:       OpenCL C
    .language_version:
      - 2
      - 0
    .max_flat_workgroup_size: 238
    .name:           fft_rtc_back_len306_factors_17_2_9_wgs_238_tpt_34_halfLds_dp_ip_CI_unitstride_sbrr_R2C_dirReg
    .private_segment_fixed_size: 0
    .sgpr_count:     58
    .sgpr_spill_count: 0
    .symbol:         fft_rtc_back_len306_factors_17_2_9_wgs_238_tpt_34_halfLds_dp_ip_CI_unitstride_sbrr_R2C_dirReg.kd
    .uniform_work_group_size: 1
    .uses_dynamic_stack: false
    .vgpr_count:     218
    .vgpr_spill_count: 0
    .wavefront_size: 32
    .workgroup_processor_mode: 1
amdhsa.target:   amdgcn-amd-amdhsa--gfx1201
amdhsa.version:
  - 1
  - 2
...

	.end_amdgpu_metadata
